;; amdgpu-corpus repo=ROCm/rocFFT kind=compiled arch=gfx906 opt=O3
	.text
	.amdgcn_target "amdgcn-amd-amdhsa--gfx906"
	.amdhsa_code_object_version 6
	.protected	bluestein_single_back_len1755_dim1_sp_op_CI_CI ; -- Begin function bluestein_single_back_len1755_dim1_sp_op_CI_CI
	.globl	bluestein_single_back_len1755_dim1_sp_op_CI_CI
	.p2align	8
	.type	bluestein_single_back_len1755_dim1_sp_op_CI_CI,@function
bluestein_single_back_len1755_dim1_sp_op_CI_CI: ; @bluestein_single_back_len1755_dim1_sp_op_CI_CI
; %bb.0:
	s_load_dwordx4 s[0:3], s[4:5], 0x28
	v_mul_u32_u24_e32 v1, 0x231, v0
	v_add_u32_sdwa v146, s6, v1 dst_sel:DWORD dst_unused:UNUSED_PAD src0_sel:DWORD src1_sel:WORD_1
	v_mov_b32_e32 v147, 0
	s_waitcnt lgkmcnt(0)
	v_cmp_gt_u64_e32 vcc, s[0:1], v[146:147]
	s_and_saveexec_b64 s[0:1], vcc
	s_cbranch_execz .LBB0_15
; %bb.1:
	s_load_dwordx4 s[16:19], s[4:5], 0x18
	s_movk_i32 s0, 0x75
	v_mul_lo_u16_sdwa v1, v1, s0 dst_sel:DWORD dst_unused:UNUSED_PAD src0_sel:WORD_1 src1_sel:DWORD
	v_sub_u16_e32 v162, v0, v1
	v_lshlrev_b32_e32 v161, 3, v162
	s_waitcnt lgkmcnt(0)
	s_load_dwordx4 s[12:15], s[16:17], 0x0
	s_waitcnt lgkmcnt(0)
	v_mad_u64_u32 v[0:1], s[0:1], s14, v146, 0
	v_mad_u64_u32 v[2:3], s[0:1], s12, v162, 0
	;; [unrolled: 1-line block ×3, first 2 shown]
	s_load_dwordx2 s[14:15], s[4:5], 0x0
	v_mad_u64_u32 v[5:6], s[0:1], s13, v162, v[3:4]
	v_mov_b32_e32 v1, v4
	v_lshlrev_b64 v[0:1], 3, v[0:1]
	v_mov_b32_e32 v6, s3
	v_mov_b32_e32 v3, v5
	v_add_co_u32_e32 v4, vcc, s2, v0
	v_addc_co_u32_e32 v5, vcc, v6, v1, vcc
	v_lshlrev_b64 v[0:1], 3, v[2:3]
	s_mul_i32 s0, s13, 0x87
	s_mul_hi_u32 s1, s12, 0x87
	v_add_co_u32_e32 v0, vcc, v4, v0
	s_waitcnt lgkmcnt(0)
	v_mov_b32_e32 v2, s15
	v_add_co_u32_e64 v128, s[2:3], s14, v161
	s_add_i32 s1, s1, s0
	s_mul_i32 s0, s12, 0x87
	v_addc_co_u32_e32 v1, vcc, v5, v1, vcc
	v_addc_co_u32_e64 v129, vcc, 0, v2, s[2:3]
	s_lshl_b64 s[16:17], s[0:1], 3
	v_mov_b32_e32 v32, s17
	v_add_co_u32_e32 v2, vcc, s16, v0
	v_addc_co_u32_e32 v3, vcc, v1, v32, vcc
	v_add_co_u32_e32 v4, vcc, s16, v2
	v_addc_co_u32_e32 v5, vcc, v3, v32, vcc
	;; [unrolled: 2-line block ×3, first 2 shown]
	global_load_dwordx2 v[8:9], v[0:1], off
	global_load_dwordx2 v[10:11], v[2:3], off
	;; [unrolled: 1-line block ×4, first 2 shown]
	global_load_dwordx2 v[155:156], v161, s[14:15]
	global_load_dwordx2 v[153:154], v161, s[14:15] offset:1080
	global_load_dwordx2 v[149:150], v161, s[14:15] offset:2160
	;; [unrolled: 1-line block ×3, first 2 shown]
	v_add_co_u32_e32 v2, vcc, s16, v6
	v_addc_co_u32_e32 v3, vcc, v7, v32, vcc
	s_movk_i32 s0, 0x1000
	v_add_co_u32_e32 v0, vcc, s0, v128
	v_addc_co_u32_e32 v1, vcc, 0, v129, vcc
	global_load_dwordx2 v[16:17], v[2:3], off
	v_add_co_u32_e32 v2, vcc, s16, v2
	v_addc_co_u32_e32 v3, vcc, v3, v32, vcc
	global_load_dwordx2 v[18:19], v[2:3], off
	v_add_co_u32_e32 v2, vcc, s16, v2
	v_addc_co_u32_e32 v3, vcc, v3, v32, vcc
	global_load_dwordx2 v[20:21], v[2:3], off
	v_add_co_u32_e32 v2, vcc, s16, v2
	v_addc_co_u32_e32 v3, vcc, v3, v32, vcc
	v_add_co_u32_e32 v4, vcc, s16, v2
	v_addc_co_u32_e32 v5, vcc, v3, v32, vcc
	s_movk_i32 s0, 0x2000
	global_load_dwordx2 v[22:23], v[2:3], off
	global_load_dwordx2 v[151:152], v[0:1], off offset:224
	global_load_dwordx2 v[147:148], v[0:1], off offset:1304
	;; [unrolled: 1-line block ×4, first 2 shown]
	v_add_co_u32_e32 v2, vcc, s0, v128
	v_addc_co_u32_e32 v3, vcc, 0, v129, vcc
	global_load_dwordx2 v[24:25], v[4:5], off
	v_add_co_u32_e32 v4, vcc, s16, v4
	v_addc_co_u32_e32 v5, vcc, v5, v32, vcc
	global_load_dwordx2 v[26:27], v[4:5], off
	global_load_dwordx2 v[140:141], v[2:3], off offset:448
	global_load_dwordx2 v[134:135], v[2:3], off offset:1528
	v_add_co_u32_e32 v4, vcc, s16, v4
	v_addc_co_u32_e32 v5, vcc, v5, v32, vcc
	global_load_dwordx2 v[28:29], v[4:5], off
	v_add_co_u32_e32 v4, vcc, s16, v4
	v_addc_co_u32_e32 v5, vcc, v5, v32, vcc
	v_add_co_u32_e32 v6, vcc, s16, v4
	v_addc_co_u32_e32 v7, vcc, v5, v32, vcc
	s_movk_i32 s0, 0x3000
	global_load_dwordx2 v[30:31], v[4:5], off
	global_load_dwordx2 v[136:137], v[2:3], off offset:2608
	global_load_dwordx2 v[132:133], v[2:3], off offset:3688
	v_add_co_u32_e32 v4, vcc, s0, v128
	v_addc_co_u32_e32 v5, vcc, 0, v129, vcc
	global_load_dwordx2 v[32:33], v[6:7], off
	global_load_dwordx2 v[130:131], v[4:5], off offset:672
	s_load_dwordx2 s[6:7], s[4:5], 0x38
	s_load_dwordx4 s[8:11], s[18:19], 0x0
	v_cmp_gt_u16_e64 s[0:1], 18, v162
	s_waitcnt vmcnt(21)
	v_mul_f32_e32 v34, v9, v156
	v_fmac_f32_e32 v34, v8, v155
	v_mul_f32_e32 v8, v8, v156
	v_fma_f32 v35, v9, v155, -v8
	s_waitcnt vmcnt(20)
	v_mul_f32_e32 v8, v11, v154
	v_mul_f32_e32 v9, v10, v154
	v_fmac_f32_e32 v8, v10, v153
	v_fma_f32 v9, v11, v153, -v9
	ds_write2_b64 v161, v[34:35], v[8:9] offset1:135
	s_waitcnt vmcnt(19)
	v_mul_f32_e32 v8, v12, v150
	v_mul_f32_e32 v9, v13, v150
	v_fma_f32 v10, v13, v149, -v8
	s_waitcnt vmcnt(18)
	v_mul_f32_e32 v11, v15, v145
	v_mul_f32_e32 v8, v14, v145
	v_fmac_f32_e32 v9, v12, v149
	v_fmac_f32_e32 v11, v14, v144
	v_fma_f32 v12, v15, v144, -v8
	v_add_u32_e32 v8, 0x800, v161
	ds_write2_b64 v8, v[9:10], v[11:12] offset0:14 offset1:149
	s_waitcnt vmcnt(13)
	v_mul_f32_e32 v9, v16, v152
	v_mul_f32_e32 v10, v17, v152
	v_fma_f32 v11, v17, v151, -v9
	s_waitcnt vmcnt(12)
	v_mul_f32_e32 v12, v19, v148
	v_mul_f32_e32 v9, v18, v148
	v_fmac_f32_e32 v10, v16, v151
	v_fmac_f32_e32 v12, v18, v147
	v_fma_f32 v13, v19, v147, -v9
	v_add_u32_e32 v9, 0x1000, v161
	ds_write2_b64 v9, v[10:11], v[12:13] offset0:28 offset1:163
	;; [unrolled: 12-line block ×5, first 2 shown]
	s_waitcnt vmcnt(0)
	v_mul_f32_e32 v13, v33, v131
	v_mul_f32_e32 v14, v32, v131
	v_fmac_f32_e32 v13, v32, v130
	v_fma_f32 v14, v33, v130, -v14
	ds_write_b64 v161, v[13:14] offset:12960
	s_and_saveexec_b64 s[18:19], s[0:1]
	s_cbranch_execz .LBB0_3
; %bb.2:
	v_mov_b32_e32 v13, 0xffffd108
	v_mad_u64_u32 v[6:7], s[20:21], s12, v13, v[6:7]
	s_mulk_i32 s13, 0xd108
	s_sub_i32 s12, s13, s12
	v_add_u32_e32 v7, s12, v7
	global_load_dwordx2 v[13:14], v[6:7], off
	global_load_dwordx2 v[15:16], v[128:129], off offset:936
	v_mov_b32_e32 v57, s17
	v_add_co_u32_e32 v6, vcc, s16, v6
	v_addc_co_u32_e32 v7, vcc, v7, v57, vcc
	global_load_dwordx2 v[17:18], v[6:7], off
	v_add_co_u32_e32 v6, vcc, s16, v6
	v_addc_co_u32_e32 v7, vcc, v7, v57, vcc
	global_load_dwordx2 v[19:20], v[6:7], off
	;; [unrolled: 3-line block ×3, first 2 shown]
	global_load_dwordx2 v[23:24], v[128:129], off offset:2016
	global_load_dwordx2 v[25:26], v[128:129], off offset:3096
	;; [unrolled: 1-line block ×3, first 2 shown]
	v_add_co_u32_e32 v6, vcc, s16, v6
	v_addc_co_u32_e32 v7, vcc, v7, v57, vcc
	global_load_dwordx2 v[29:30], v[6:7], off
	v_add_co_u32_e32 v6, vcc, s16, v6
	v_addc_co_u32_e32 v7, vcc, v7, v57, vcc
	global_load_dwordx2 v[31:32], v[6:7], off
	global_load_dwordx2 v[33:34], v[0:1], off offset:1160
	global_load_dwordx2 v[35:36], v[0:1], off offset:2240
	v_add_co_u32_e32 v6, vcc, s16, v6
	v_addc_co_u32_e32 v7, vcc, v7, v57, vcc
	global_load_dwordx2 v[37:38], v[6:7], off
	v_add_co_u32_e32 v6, vcc, s16, v6
	v_addc_co_u32_e32 v7, vcc, v7, v57, vcc
	global_load_dwordx2 v[39:40], v[6:7], off
	global_load_dwordx2 v[41:42], v[0:1], off offset:3320
	global_load_dwordx2 v[43:44], v[2:3], off offset:304
	v_add_co_u32_e32 v0, vcc, s16, v6
	v_addc_co_u32_e32 v1, vcc, v7, v57, vcc
	global_load_dwordx2 v[6:7], v[0:1], off
	v_add_co_u32_e32 v0, vcc, s16, v0
	v_addc_co_u32_e32 v1, vcc, v1, v57, vcc
	global_load_dwordx2 v[45:46], v[2:3], off offset:1384
	global_load_dwordx2 v[47:48], v[0:1], off
	global_load_dwordx2 v[49:50], v[2:3], off offset:2464
	v_add_co_u32_e32 v0, vcc, s16, v0
	v_addc_co_u32_e32 v1, vcc, v1, v57, vcc
	global_load_dwordx2 v[51:52], v[0:1], off
	global_load_dwordx2 v[53:54], v[2:3], off offset:3544
	v_add_co_u32_e32 v0, vcc, s16, v0
	v_addc_co_u32_e32 v1, vcc, v1, v57, vcc
	;; [unrolled: 4-line block ×3, first 2 shown]
	global_load_dwordx2 v[57:58], v[4:5], off offset:1608
	global_load_dwordx2 v[59:60], v[0:1], off
	s_waitcnt vmcnt(24)
	v_mul_f32_e32 v0, v14, v16
	v_mul_f32_e32 v1, v13, v16
	v_fmac_f32_e32 v0, v13, v15
	v_fma_f32 v1, v14, v15, -v1
	v_add_u32_e32 v13, 0xc00, v161
	s_waitcnt vmcnt(20)
	v_mul_f32_e32 v4, v18, v24
	v_mul_f32_e32 v5, v17, v24
	v_fmac_f32_e32 v4, v17, v23
	v_fma_f32 v5, v18, v23, -v5
	ds_write2_b64 v161, v[0:1], v[4:5] offset0:117 offset1:252
	s_waitcnt vmcnt(19)
	v_mul_f32_e32 v0, v20, v26
	v_mul_f32_e32 v1, v19, v26
	s_waitcnt vmcnt(18)
	v_mul_f32_e32 v4, v22, v28
	v_mul_f32_e32 v5, v21, v28
	v_fmac_f32_e32 v0, v19, v25
	v_fma_f32 v1, v20, v25, -v1
	v_fmac_f32_e32 v4, v21, v27
	v_fma_f32 v5, v22, v27, -v5
	ds_write2_b64 v13, v[0:1], v[4:5] offset0:3 offset1:138
	s_waitcnt vmcnt(15)
	v_mul_f32_e32 v0, v30, v34
	v_mul_f32_e32 v1, v29, v34
	s_waitcnt vmcnt(14)
	v_mul_f32_e32 v4, v32, v36
	v_mul_f32_e32 v5, v31, v36
	v_fmac_f32_e32 v0, v29, v33
	v_fma_f32 v1, v30, v33, -v1
	v_fmac_f32_e32 v4, v31, v35
	v_fma_f32 v5, v32, v35, -v5
	v_add_u32_e32 v13, 0x1400, v161
	ds_write2_b64 v13, v[0:1], v[4:5] offset0:17 offset1:152
	s_waitcnt vmcnt(11)
	v_mul_f32_e32 v0, v38, v42
	v_mul_f32_e32 v1, v37, v42
	s_waitcnt vmcnt(10)
	v_mul_f32_e32 v4, v40, v44
	v_mul_f32_e32 v5, v39, v44
	v_fmac_f32_e32 v0, v37, v41
	v_fma_f32 v1, v38, v41, -v1
	v_fmac_f32_e32 v4, v39, v43
	v_fma_f32 v5, v40, v43, -v5
	v_add_u32_e32 v13, 0x1c00, v161
	;; [unrolled: 12-line block ×3, first 2 shown]
	ds_write2_b64 v6, v[0:1], v[4:5] offset0:45 offset1:180
	s_waitcnt vmcnt(2)
	v_mul_f32_e32 v4, v3, v56
	v_mul_f32_e32 v0, v52, v54
	;; [unrolled: 1-line block ×3, first 2 shown]
	v_fmac_f32_e32 v4, v2, v55
	v_mul_f32_e32 v2, v2, v56
	v_fmac_f32_e32 v0, v51, v53
	v_fma_f32 v1, v52, v53, -v1
	v_fma_f32 v5, v3, v55, -v2
	v_add_u32_e32 v2, 0x2c00, v161
	ds_write2_b64 v2, v[0:1], v[4:5] offset0:59 offset1:194
	s_waitcnt vmcnt(0)
	v_mul_f32_e32 v0, v60, v58
	v_mul_f32_e32 v1, v59, v58
	v_fmac_f32_e32 v0, v59, v57
	v_fma_f32 v1, v60, v57, -v1
	ds_write_b64 v161, v[0:1] offset:13896
.LBB0_3:
	s_or_b64 exec, exec, s[18:19]
	s_waitcnt lgkmcnt(0)
	s_barrier
	ds_read2_b64 v[44:47], v161 offset1:135
	ds_read2_b64 v[32:35], v8 offset0:14 offset1:149
	ds_read2_b64 v[24:27], v9 offset0:28 offset1:163
	;; [unrolled: 1-line block ×5, first 2 shown]
	ds_read_b64 v[52:53], v161 offset:12960
	s_load_dwordx2 s[4:5], s[4:5], 0x8
	v_mov_b32_e32 v0, 0
	v_mov_b32_e32 v1, 0
                                        ; implicit-def: $vgpr6
                                        ; implicit-def: $vgpr16
                                        ; implicit-def: $vgpr40
                                        ; implicit-def: $vgpr48
                                        ; implicit-def: $vgpr14
                                        ; implicit-def: $vgpr10
	s_and_saveexec_b64 s[12:13], s[0:1]
	s_cbranch_execz .LBB0_5
; %bb.4:
	v_add_u32_e32 v4, 0xc00, v161
	ds_read2_b64 v[8:11], v4 offset0:3 offset1:138
	v_add_u32_e32 v4, 0x1400, v161
	ds_read2_b64 v[12:15], v4 offset0:17 offset1:152
	v_add_u32_e32 v4, 0x1c00, v161
	v_add_u32_e32 v16, 0x2400, v161
	;; [unrolled: 1-line block ×3, first 2 shown]
	ds_read2_b64 v[0:3], v161 offset0:117 offset1:252
	ds_read2_b64 v[4:7], v4 offset0:31 offset1:166
	;; [unrolled: 1-line block ×4, first 2 shown]
	ds_read_b64 v[48:49], v161 offset:13896
.LBB0_5:
	s_or_b64 exec, exec, s[12:13]
	s_waitcnt lgkmcnt(0)
	v_add_f32_e32 v50, v44, v46
	v_add_f32_e32 v51, v45, v47
	;; [unrolled: 1-line block ×23, first 2 shown]
	v_sub_f32_e32 v46, v46, v52
	v_sub_f32_e32 v47, v47, v53
	v_add_f32_e32 v51, v51, v39
	v_add_f32_e32 v50, v50, v52
	v_mul_f32_e32 v52, 0xbeedf032, v47
	s_mov_b32 s16, 0x3f62ad3f
	v_mul_f32_e32 v56, 0xbeedf032, v46
	v_mul_f32_e32 v58, 0xbf52af12, v47
	s_mov_b32 s13, 0x3f116cb1
	v_mul_f32_e32 v60, 0xbf52af12, v46
	;; [unrolled: 3-line block ×6, first 2 shown]
	v_add_f32_e32 v51, v51, v53
	v_fma_f32 v53, v54, s16, -v52
	v_mov_b32_e32 v57, v56
	v_fmac_f32_e32 v52, 0x3f62ad3f, v54
	v_fma_f32 v59, v54, s13, -v58
	v_mov_b32_e32 v61, v60
	v_fmac_f32_e32 v58, 0x3f116cb1, v54
	;; [unrolled: 3-line block ×6, first 2 shown]
	v_add_f32_e32 v53, v44, v53
	v_fmac_f32_e32 v57, 0x3f62ad3f, v55
	v_add_f32_e32 v52, v44, v52
	v_fma_f32 v56, v55, s16, -v56
	v_add_f32_e32 v59, v44, v59
	v_fmac_f32_e32 v61, 0x3f116cb1, v55
	v_add_f32_e32 v58, v44, v58
	v_fma_f32 v60, v55, s13, -v60
	;; [unrolled: 4-line block ×6, first 2 shown]
	v_add_f32_e32 v47, v39, v33
	v_sub_f32_e32 v33, v33, v39
	v_add_f32_e32 v57, v45, v57
	v_add_f32_e32 v56, v45, v56
	;; [unrolled: 1-line block ×13, first 2 shown]
	v_sub_f32_e32 v32, v32, v38
	v_mul_f32_e32 v38, 0xbf52af12, v33
	v_fma_f32 v39, v46, s13, -v38
	v_add_f32_e32 v39, v39, v53
	v_mul_f32_e32 v53, 0xbf52af12, v32
	v_fmac_f32_e32 v38, 0x3f116cb1, v46
	v_mov_b32_e32 v54, v53
	v_add_f32_e32 v38, v38, v52
	v_fma_f32 v52, v47, s13, -v53
	v_mul_f32_e32 v53, 0xbf6f5d39, v33
	v_fmac_f32_e32 v54, 0x3f116cb1, v47
	v_add_f32_e32 v52, v52, v56
	v_fma_f32 v55, v46, s17, -v53
	v_mul_f32_e32 v56, 0xbf6f5d39, v32
	v_fmac_f32_e32 v53, 0xbeb58ec6, v46
	v_add_f32_e32 v54, v54, v57
	v_mov_b32_e32 v57, v56
	v_add_f32_e32 v53, v53, v58
	v_fma_f32 v56, v47, s17, -v56
	v_mul_f32_e32 v58, 0xbe750f2a, v33
	v_add_f32_e32 v55, v55, v59
	v_fmac_f32_e32 v57, 0xbeb58ec6, v47
	v_add_f32_e32 v56, v56, v60
	v_fma_f32 v59, v46, s19, -v58
	v_mul_f32_e32 v60, 0xbe750f2a, v32
	v_fmac_f32_e32 v58, 0xbf788fa5, v46
	v_add_f32_e32 v57, v57, v61
	v_mov_b32_e32 v61, v60
	v_add_f32_e32 v58, v58, v62
	v_fma_f32 v60, v47, s19, -v60
	v_mul_f32_e32 v62, 0x3f29c268, v33
	v_add_f32_e32 v59, v59, v63
	v_fmac_f32_e32 v61, 0xbf788fa5, v47
	v_add_f32_e32 v60, v60, v64
	v_fma_f32 v63, v46, s18, -v62
	v_mul_f32_e32 v64, 0x3f29c268, v32
	v_fmac_f32_e32 v62, 0xbf3f9e67, v46
	v_add_f32_e32 v61, v61, v65
	v_mov_b32_e32 v65, v64
	v_add_f32_e32 v62, v62, v66
	v_fma_f32 v64, v47, s18, -v64
	v_mul_f32_e32 v66, 0x3f7e222b, v33
	v_add_f32_e32 v63, v63, v67
	v_add_f32_e32 v64, v64, v68
	v_fma_f32 v67, v46, s12, -v66
	v_mul_f32_e32 v68, 0x3f7e222b, v32
	v_mul_f32_e32 v32, 0x3eedf032, v32
	v_add_f32_e32 v67, v67, v71
	v_fmac_f32_e32 v66, 0x3df6dbef, v46
	v_mul_f32_e32 v33, 0x3eedf032, v33
	v_mov_b32_e32 v71, v32
	v_fma_f32 v32, v47, s16, -v32
	v_add_f32_e32 v66, v66, v70
	v_fma_f32 v70, v46, s16, -v33
	v_fmac_f32_e32 v33, 0x3f62ad3f, v46
	v_add_f32_e32 v32, v32, v45
	v_add_f32_e32 v45, v37, v35
	v_sub_f32_e32 v35, v35, v37
	v_add_f32_e32 v33, v33, v44
	v_add_f32_e32 v44, v36, v34
	v_sub_f32_e32 v34, v34, v36
	v_mul_f32_e32 v36, 0xbf7e222b, v35
	v_fma_f32 v37, v44, s12, -v36
	v_fmac_f32_e32 v65, 0xbf3f9e67, v47
	v_add_f32_e32 v37, v37, v39
	v_mul_f32_e32 v39, 0xbf7e222b, v34
	v_fmac_f32_e32 v36, 0x3df6dbef, v44
	v_add_f32_e32 v65, v65, v69
	v_mov_b32_e32 v69, v68
	v_mov_b32_e32 v46, v39
	v_add_f32_e32 v36, v36, v38
	v_fma_f32 v38, v45, s12, -v39
	v_mul_f32_e32 v39, 0xbe750f2a, v35
	v_fmac_f32_e32 v69, 0x3df6dbef, v47
	v_fma_f32 v68, v47, s12, -v68
	v_fmac_f32_e32 v71, 0x3f62ad3f, v47
	v_fma_f32 v47, v44, s19, -v39
	v_fmac_f32_e32 v39, 0xbf788fa5, v44
	v_fmac_f32_e32 v46, 0x3df6dbef, v45
	v_add_f32_e32 v38, v38, v52
	v_mul_f32_e32 v52, 0xbe750f2a, v34
	v_add_f32_e32 v39, v39, v53
	v_mul_f32_e32 v53, 0x3f6f5d39, v35
	v_add_f32_e32 v46, v46, v54
	v_add_f32_e32 v47, v47, v55
	v_mov_b32_e32 v54, v52
	v_fma_f32 v52, v45, s19, -v52
	v_fma_f32 v55, v44, s17, -v53
	v_fmac_f32_e32 v53, 0xbeb58ec6, v44
	v_fmac_f32_e32 v54, 0xbf788fa5, v45
	v_add_f32_e32 v52, v52, v56
	v_mul_f32_e32 v56, 0x3f6f5d39, v34
	v_add_f32_e32 v53, v53, v58
	v_mul_f32_e32 v58, 0x3eedf032, v35
	v_add_f32_e32 v54, v54, v57
	v_add_f32_e32 v55, v55, v59
	v_mov_b32_e32 v57, v56
	v_fma_f32 v56, v45, s17, -v56
	;; [unrolled: 11-line block ×3, first 2 shown]
	v_fma_f32 v63, v44, s13, -v62
	v_fmac_f32_e32 v62, 0x3f116cb1, v44
	v_mul_f32_e32 v35, 0xbf29c268, v35
	v_add_f32_e32 v60, v60, v64
	v_mul_f32_e32 v64, 0xbf52af12, v34
	v_add_f32_e32 v62, v62, v66
	v_fma_f32 v66, v44, s18, -v35
	v_mul_f32_e32 v34, 0xbf29c268, v34
	v_fmac_f32_e32 v35, 0xbf3f9e67, v44
	v_add_f32_e32 v63, v63, v67
	v_mov_b32_e32 v67, v34
	v_add_f32_e32 v33, v35, v33
	v_fma_f32 v34, v45, s18, -v34
	v_add_f32_e32 v35, v31, v25
	v_sub_f32_e32 v25, v25, v31
	v_add_f32_e32 v32, v34, v32
	v_add_f32_e32 v34, v30, v24
	v_sub_f32_e32 v24, v24, v30
	v_mul_f32_e32 v30, 0xbf6f5d39, v25
	v_fma_f32 v31, v34, s17, -v30
	v_fmac_f32_e32 v61, 0x3f62ad3f, v45
	v_add_f32_e32 v31, v31, v37
	v_mul_f32_e32 v37, 0xbf6f5d39, v24
	v_fmac_f32_e32 v30, 0xbeb58ec6, v34
	v_add_f32_e32 v61, v61, v65
	v_mov_b32_e32 v65, v64
	v_mov_b32_e32 v44, v37
	v_add_f32_e32 v30, v30, v36
	v_fma_f32 v36, v35, s17, -v37
	v_mul_f32_e32 v37, 0x3f29c268, v25
	v_fmac_f32_e32 v65, 0x3f116cb1, v45
	v_fma_f32 v64, v45, s13, -v64
	v_fmac_f32_e32 v67, 0xbf3f9e67, v45
	v_fmac_f32_e32 v44, 0xbeb58ec6, v35
	v_add_f32_e32 v36, v36, v38
	v_fma_f32 v38, v34, s18, -v37
	v_mul_f32_e32 v45, 0x3f29c268, v24
	v_fmac_f32_e32 v37, 0xbf3f9e67, v34
	v_add_f32_e32 v44, v44, v46
	v_mov_b32_e32 v46, v45
	v_add_f32_e32 v37, v37, v39
	v_fma_f32 v39, v35, s18, -v45
	v_mul_f32_e32 v45, 0x3eedf032, v25
	v_add_f32_e32 v38, v38, v47
	v_fma_f32 v47, v34, s16, -v45
	v_fmac_f32_e32 v45, 0x3f62ad3f, v34
	v_fmac_f32_e32 v46, 0xbf3f9e67, v35
	v_add_f32_e32 v39, v39, v52
	v_mul_f32_e32 v52, 0x3eedf032, v24
	v_add_f32_e32 v45, v45, v53
	v_mul_f32_e32 v53, 0xbf7e222b, v25
	v_add_f32_e32 v46, v46, v54
	v_add_f32_e32 v47, v47, v55
	v_mov_b32_e32 v54, v52
	v_fma_f32 v52, v35, s16, -v52
	v_fma_f32 v55, v34, s12, -v53
	v_fmac_f32_e32 v53, 0x3df6dbef, v34
	v_fmac_f32_e32 v54, 0x3f62ad3f, v35
	v_add_f32_e32 v52, v52, v56
	v_mul_f32_e32 v56, 0xbf7e222b, v24
	v_add_f32_e32 v53, v53, v58
	v_mul_f32_e32 v58, 0x3e750f2a, v25
	v_add_f32_e32 v54, v54, v57
	v_add_f32_e32 v55, v55, v59
	v_mov_b32_e32 v57, v56
	v_fma_f32 v56, v35, s12, -v56
	v_fma_f32 v59, v34, s19, -v58
	v_fmac_f32_e32 v58, 0xbf788fa5, v34
	v_mul_f32_e32 v25, 0x3f52af12, v25
	v_add_f32_e32 v56, v56, v60
	v_mul_f32_e32 v60, 0x3e750f2a, v24
	v_add_f32_e32 v58, v58, v62
	v_fma_f32 v62, v34, s13, -v25
	v_mul_f32_e32 v24, 0x3f52af12, v24
	v_fmac_f32_e32 v25, 0x3f116cb1, v34
	v_add_f32_e32 v59, v59, v63
	v_mov_b32_e32 v63, v24
	v_add_f32_e32 v25, v25, v33
	v_fma_f32 v24, v35, s13, -v24
	v_add_f32_e32 v33, v29, v27
	v_sub_f32_e32 v27, v27, v29
	v_add_f32_e32 v24, v24, v32
	v_add_f32_e32 v32, v28, v26
	v_sub_f32_e32 v26, v26, v28
	v_mul_f32_e32 v28, 0xbf29c268, v27
	v_fma_f32 v29, v32, s18, -v28
	v_fmac_f32_e32 v57, 0x3df6dbef, v35
	v_add_f32_e32 v29, v29, v31
	v_mul_f32_e32 v31, 0xbf29c268, v26
	v_fmac_f32_e32 v28, 0xbf3f9e67, v32
	v_add_f32_e32 v57, v57, v61
	v_mov_b32_e32 v61, v60
	v_mov_b32_e32 v34, v31
	v_add_f32_e32 v28, v28, v30
	v_fma_f32 v30, v33, s18, -v31
	v_mul_f32_e32 v31, 0x3f7e222b, v27
	v_fmac_f32_e32 v61, 0xbf788fa5, v35
	v_fma_f32 v60, v35, s19, -v60
	v_fmac_f32_e32 v63, 0x3f116cb1, v35
	v_add_f32_e32 v30, v30, v36
	v_fma_f32 v35, v32, s12, -v31
	v_mul_f32_e32 v36, 0x3f7e222b, v26
	v_fmac_f32_e32 v34, 0xbf3f9e67, v33
	v_add_f32_e32 v35, v35, v38
	v_mov_b32_e32 v38, v36
	v_add_f32_e32 v34, v34, v44
	v_fmac_f32_e32 v38, 0x3df6dbef, v33
	v_fmac_f32_e32 v31, 0x3df6dbef, v32
	v_mul_f32_e32 v44, 0xbf52af12, v26
	v_add_f32_e32 v38, v38, v46
	v_add_f32_e32 v31, v31, v37
	v_fma_f32 v36, v33, s12, -v36
	v_mul_f32_e32 v37, 0xbf52af12, v27
	v_mov_b32_e32 v46, v44
	v_fma_f32 v44, v33, s13, -v44
	v_add_f32_e32 v36, v36, v39
	v_fma_f32 v39, v32, s13, -v37
	v_fmac_f32_e32 v37, 0x3f116cb1, v32
	v_add_f32_e32 v52, v44, v52
	v_mul_f32_e32 v44, 0x3e750f2a, v27
	v_add_f32_e32 v37, v37, v45
	v_fma_f32 v45, v32, s19, -v44
	v_add_f32_e32 v55, v45, v55
	v_mul_f32_e32 v45, 0x3e750f2a, v26
	v_fmac_f32_e32 v44, 0xbf788fa5, v32
	v_add_f32_e32 v53, v44, v53
	v_fma_f32 v44, v33, s19, -v45
	v_fmac_f32_e32 v46, 0x3f116cb1, v33
	v_add_f32_e32 v56, v44, v56
	v_mul_f32_e32 v44, 0x3eedf032, v27
	v_add_f32_e32 v68, v68, v72
	v_add_f32_e32 v54, v46, v54
	v_mov_b32_e32 v46, v45
	v_fma_f32 v45, v32, s16, -v44
	v_add_f32_e32 v70, v70, v74
	v_add_f32_e32 v64, v64, v68
	;; [unrolled: 1-line block ×3, first 2 shown]
	v_mul_f32_e32 v45, 0x3eedf032, v26
	v_fmac_f32_e32 v44, 0x3f62ad3f, v32
	v_add_f32_e32 v66, v66, v70
	v_add_f32_e32 v60, v60, v64
	v_add_f32_e32 v58, v44, v58
	v_fma_f32 v44, v33, s16, -v45
	v_mul_f32_e32 v27, 0xbf6f5d39, v27
	v_add_f32_e32 v62, v62, v66
	v_add_f32_e32 v60, v44, v60
	v_fma_f32 v44, v32, s17, -v27
	v_mul_f32_e32 v26, 0xbf6f5d39, v26
	v_fmac_f32_e32 v27, 0xbeb58ec6, v32
	v_add_f32_e32 v62, v44, v62
	v_mov_b32_e32 v44, v26
	v_add_f32_e32 v25, v27, v25
	v_fma_f32 v26, v33, s17, -v26
	v_add_f32_e32 v27, v23, v21
	v_sub_f32_e32 v21, v21, v23
	v_add_f32_e32 v71, v71, v75
	v_add_f32_e32 v24, v26, v24
	;; [unrolled: 1-line block ×3, first 2 shown]
	v_sub_f32_e32 v20, v20, v22
	v_mul_f32_e32 v22, 0xbe750f2a, v21
	v_add_f32_e32 v67, v67, v71
	v_fma_f32 v23, v26, s19, -v22
	v_add_f32_e32 v63, v63, v67
	v_fmac_f32_e32 v44, 0xbeb58ec6, v33
	v_add_f32_e32 v76, v23, v29
	v_mul_f32_e32 v23, 0xbe750f2a, v20
	v_fmac_f32_e32 v22, 0xbf788fa5, v26
	v_fmac_f32_e32 v46, 0xbf788fa5, v33
	v_add_f32_e32 v63, v44, v63
	v_add_f32_e32 v44, v22, v28
	v_fma_f32 v22, v27, s19, -v23
	v_add_f32_e32 v69, v69, v73
	v_add_f32_e32 v57, v46, v57
	v_mov_b32_e32 v46, v45
	v_add_f32_e32 v45, v22, v30
	v_mul_f32_e32 v22, 0x3eedf032, v21
	v_add_f32_e32 v65, v65, v69
	v_mov_b32_e32 v29, v23
	v_fma_f32 v23, v26, s16, -v22
	v_add_f32_e32 v61, v61, v65
	v_fmac_f32_e32 v46, 0x3f62ad3f, v33
	v_add_f32_e32 v78, v23, v35
	v_mul_f32_e32 v23, 0x3eedf032, v20
	v_fmac_f32_e32 v22, 0x3f62ad3f, v26
	v_add_f32_e32 v61, v46, v61
	v_add_f32_e32 v46, v22, v31
	v_fma_f32 v22, v27, s16, -v23
	v_add_f32_e32 v39, v39, v47
	v_add_f32_e32 v47, v22, v36
	v_mul_f32_e32 v22, 0xbf29c268, v21
	v_mov_b32_e32 v28, v23
	v_fma_f32 v23, v26, s18, -v22
	v_add_f32_e32 v81, v23, v39
	v_mul_f32_e32 v23, 0xbf29c268, v20
	v_fmac_f32_e32 v22, 0xbf3f9e67, v26
	v_add_f32_e32 v83, v22, v37
	v_fma_f32 v22, v27, s18, -v23
	v_fmac_f32_e32 v28, 0x3f62ad3f, v27
	v_add_f32_e32 v84, v22, v52
	v_mul_f32_e32 v22, 0x3f52af12, v21
	v_add_f32_e32 v79, v28, v38
	v_mov_b32_e32 v28, v23
	v_fma_f32 v23, v26, s13, -v22
	v_add_f32_e32 v85, v23, v55
	v_mul_f32_e32 v23, 0x3f52af12, v20
	v_fmac_f32_e32 v22, 0x3f116cb1, v26
	v_add_f32_e32 v87, v22, v53
	v_fma_f32 v22, v27, s13, -v23
	v_fmac_f32_e32 v28, 0xbf3f9e67, v27
	v_add_f32_e32 v88, v22, v56
	v_mul_f32_e32 v22, 0xbf6f5d39, v21
	v_add_f32_e32 v82, v28, v54
	v_mov_b32_e32 v28, v23
	v_fma_f32 v23, v26, s17, -v22
	v_add_f32_e32 v89, v23, v59
	v_mul_f32_e32 v23, 0xbf6f5d39, v20
	v_fmac_f32_e32 v22, 0xbeb58ec6, v26
	v_fmac_f32_e32 v28, 0x3f116cb1, v27
	v_add_f32_e32 v91, v22, v58
	v_fma_f32 v22, v27, s17, -v23
	v_mul_f32_e32 v21, 0x3f7e222b, v21
	v_add_f32_e32 v86, v28, v57
	v_mov_b32_e32 v28, v23
	v_add_f32_e32 v92, v22, v60
	v_fma_f32 v22, v26, s12, -v21
	v_mul_f32_e32 v20, 0x3f7e222b, v20
	v_fmac_f32_e32 v21, 0x3df6dbef, v26
	v_fmac_f32_e32 v28, 0xbeb58ec6, v27
	v_add_f32_e32 v93, v22, v62
	v_mov_b32_e32 v22, v20
	v_add_f32_e32 v95, v21, v25
	v_fma_f32 v20, v27, s12, -v20
	v_sub_f32_e32 v21, v3, v49
	v_fmac_f32_e32 v29, 0xbf788fa5, v27
	v_add_f32_e32 v90, v28, v61
	v_add_f32_e32 v96, v20, v24
	;; [unrolled: 1-line block ×3, first 2 shown]
	v_sub_f32_e32 v20, v2, v48
	v_mul_f32_e32 v52, 0xbeedf032, v21
	v_mul_f32_e32 v24, 0xbf52af12, v21
	;; [unrolled: 1-line block ×6, first 2 shown]
	v_add_f32_e32 v77, v29, v34
	v_mul_f32_e32 v53, 0xbeedf032, v20
	v_mul_f32_e32 v26, 0xbf52af12, v20
	;; [unrolled: 1-line block ×5, first 2 shown]
	v_fma_f32 v56, v54, s19, -v21
	v_mul_f32_e32 v20, 0xbe750f2a, v20
	v_fmac_f32_e32 v22, 0x3df6dbef, v27
	v_add_f32_e32 v55, v49, v3
	v_add_f32_e32 v60, v56, v0
	v_mov_b32_e32 v56, v20
	v_add_f32_e32 v94, v22, v63
	v_fmac_f32_e32 v56, 0xbf788fa5, v55
	v_sub_f32_e32 v63, v9, v43
	v_mov_b32_e32 v22, v52
	v_add_f32_e32 v61, v56, v1
	v_mul_f32_e32 v56, 0xbf52af12, v63
	v_fmac_f32_e32 v22, 0x3f62ad3f, v54
	v_add_f32_e32 v58, v42, v8
	v_sub_f32_e32 v62, v8, v42
	v_mov_b32_e32 v64, v56
	v_add_f32_e32 v22, v22, v0
	v_fma_f32 v23, v55, s16, -v53
	v_add_f32_e32 v59, v43, v9
	v_mul_f32_e32 v57, 0xbf52af12, v62
	v_fmac_f32_e32 v64, 0x3f116cb1, v58
	v_add_f32_e32 v23, v23, v1
	v_add_f32_e32 v22, v64, v22
	v_fma_f32 v64, v59, s13, -v57
	v_fma_f32 v25, v54, s13, -v24
	v_add_f32_e32 v23, v64, v23
	v_mul_f32_e32 v64, 0xbf6f5d39, v63
	v_add_f32_e32 v25, v25, v0
	v_fmac_f32_e32 v24, 0x3f116cb1, v54
	v_fma_f32 v65, v58, s17, -v64
	v_mov_b32_e32 v27, v26
	v_add_f32_e32 v24, v24, v0
	v_fma_f32 v26, v55, s13, -v26
	v_add_f32_e32 v25, v65, v25
	v_mul_f32_e32 v65, 0xbf6f5d39, v62
	v_fmac_f32_e32 v64, 0xbeb58ec6, v58
	v_add_f32_e32 v26, v26, v1
	v_add_f32_e32 v24, v64, v24
	v_fma_f32 v64, v59, s17, -v65
	v_fma_f32 v29, v54, s12, -v28
	v_add_f32_e32 v26, v64, v26
	v_mul_f32_e32 v64, 0xbe750f2a, v63
	v_add_f32_e32 v29, v29, v0
	v_fmac_f32_e32 v28, 0x3df6dbef, v54
	v_mov_b32_e32 v66, v65
	v_fma_f32 v65, v58, s19, -v64
	v_mov_b32_e32 v31, v30
	v_add_f32_e32 v28, v28, v0
	v_fma_f32 v30, v55, s12, -v30
	v_add_f32_e32 v29, v65, v29
	v_mul_f32_e32 v65, 0xbe750f2a, v62
	v_fmac_f32_e32 v64, 0xbf788fa5, v58
	v_fmac_f32_e32 v27, 0x3f116cb1, v55
	v_add_f32_e32 v30, v30, v1
	v_add_f32_e32 v28, v64, v28
	v_fma_f32 v64, v59, s19, -v65
	v_add_f32_e32 v27, v27, v1
	v_fma_f32 v33, v54, s17, -v32
	v_fmac_f32_e32 v66, 0xbeb58ec6, v59
	v_add_f32_e32 v30, v64, v30
	v_mul_f32_e32 v64, 0x3f29c268, v63
	v_add_f32_e32 v33, v33, v0
	v_fmac_f32_e32 v32, 0xbeb58ec6, v54
	v_add_f32_e32 v27, v66, v27
	v_mov_b32_e32 v66, v65
	v_fma_f32 v65, v58, s18, -v64
	v_mov_b32_e32 v35, v34
	v_add_f32_e32 v32, v32, v0
	v_fma_f32 v34, v55, s17, -v34
	v_add_f32_e32 v33, v65, v33
	v_mul_f32_e32 v65, 0x3f29c268, v62
	v_fmac_f32_e32 v64, 0xbf3f9e67, v58
	v_fmac_f32_e32 v31, 0x3df6dbef, v55
	v_add_f32_e32 v34, v34, v1
	v_add_f32_e32 v32, v64, v32
	v_fma_f32 v64, v59, s18, -v65
	v_add_f32_e32 v31, v31, v1
	v_fma_f32 v37, v54, s18, -v36
	v_fmac_f32_e32 v66, 0xbf788fa5, v59
	v_add_f32_e32 v34, v64, v34
	v_mul_f32_e32 v64, 0x3f7e222b, v63
	v_add_f32_e32 v37, v37, v0
	v_fmac_f32_e32 v36, 0xbf3f9e67, v54
	v_add_f32_e32 v31, v66, v31
	v_mov_b32_e32 v66, v65
	v_fma_f32 v65, v58, s12, -v64
	v_mov_b32_e32 v39, v38
	v_add_f32_e32 v36, v36, v0
	v_fma_f32 v38, v55, s18, -v38
	v_add_f32_e32 v37, v65, v37
	v_mul_f32_e32 v65, 0x3f7e222b, v62
	v_fmac_f32_e32 v64, 0x3df6dbef, v58
	v_add_f32_e32 v38, v38, v1
	v_add_f32_e32 v36, v64, v36
	v_fma_f32 v64, v59, s12, -v65
	v_mul_f32_e32 v63, 0x3eedf032, v63
	v_fmac_f32_e32 v35, 0xbeb58ec6, v55
	v_add_f32_e32 v38, v64, v38
	v_fma_f32 v64, v58, s16, -v63
	v_add_f32_e32 v35, v35, v1
	v_fma_f32 v20, v55, s19, -v20
	v_fmac_f32_e32 v66, 0xbf3f9e67, v59
	v_add_f32_e32 v64, v64, v60
	v_mul_f32_e32 v60, 0x3eedf032, v62
	v_fmac_f32_e32 v39, 0xbf3f9e67, v55
	v_add_f32_e32 v20, v20, v1
	v_add_f32_e32 v35, v66, v35
	v_mov_b32_e32 v66, v65
	v_mov_b32_e32 v62, v60
	v_fma_f32 v60, v59, s16, -v60
	v_sub_f32_e32 v67, v11, v41
	v_add_f32_e32 v39, v39, v1
	v_fmac_f32_e32 v21, 0xbf788fa5, v54
	v_fmac_f32_e32 v66, 0x3df6dbef, v59
	v_fmac_f32_e32 v62, 0x3f62ad3f, v59
	v_add_f32_e32 v20, v60, v20
	v_mul_f32_e32 v60, 0xbf7e222b, v67
	v_add_f32_e32 v21, v21, v0
	v_add_f32_e32 v39, v66, v39
	;; [unrolled: 1-line block ×3, first 2 shown]
	v_fmac_f32_e32 v63, 0x3f62ad3f, v58
	v_add_f32_e32 v62, v40, v10
	v_sub_f32_e32 v66, v10, v40
	v_mov_b32_e32 v68, v60
	v_add_f32_e32 v21, v63, v21
	v_add_f32_e32 v63, v41, v11
	v_mul_f32_e32 v61, 0xbf7e222b, v66
	v_fmac_f32_e32 v68, 0x3df6dbef, v62
	v_add_f32_e32 v22, v68, v22
	v_fma_f32 v68, v63, s12, -v61
	v_add_f32_e32 v23, v68, v23
	v_mul_f32_e32 v68, 0xbe750f2a, v67
	v_fma_f32 v69, v62, s19, -v68
	v_add_f32_e32 v25, v69, v25
	v_mul_f32_e32 v69, 0xbe750f2a, v66
	v_fmac_f32_e32 v68, 0xbf788fa5, v62
	v_add_f32_e32 v24, v68, v24
	v_fma_f32 v68, v63, s19, -v69
	v_add_f32_e32 v26, v68, v26
	v_mul_f32_e32 v68, 0x3f6f5d39, v67
	v_mov_b32_e32 v70, v69
	v_fma_f32 v69, v62, s17, -v68
	v_add_f32_e32 v29, v69, v29
	v_mul_f32_e32 v69, 0x3f6f5d39, v66
	v_fmac_f32_e32 v68, 0xbeb58ec6, v62
	v_add_f32_e32 v28, v68, v28
	v_fma_f32 v68, v63, s17, -v69
	v_fmac_f32_e32 v70, 0xbf788fa5, v63
	v_add_f32_e32 v30, v68, v30
	v_mul_f32_e32 v68, 0x3eedf032, v67
	v_add_f32_e32 v27, v70, v27
	v_mov_b32_e32 v70, v69
	v_fma_f32 v69, v62, s16, -v68
	v_add_f32_e32 v33, v69, v33
	v_mul_f32_e32 v69, 0x3eedf032, v66
	v_fmac_f32_e32 v68, 0x3f62ad3f, v62
	v_add_f32_e32 v32, v68, v32
	v_fma_f32 v68, v63, s16, -v69
	v_fmac_f32_e32 v70, 0xbeb58ec6, v63
	v_add_f32_e32 v34, v68, v34
	v_mul_f32_e32 v68, 0xbf52af12, v67
	v_add_f32_e32 v31, v70, v31
	v_mov_b32_e32 v70, v69
	v_fma_f32 v69, v62, s13, -v68
	v_add_f32_e32 v37, v69, v37
	v_mul_f32_e32 v69, 0xbf52af12, v66
	v_fmac_f32_e32 v68, 0x3f116cb1, v62
	v_add_f32_e32 v36, v68, v36
	v_fma_f32 v68, v63, s13, -v69
	v_mul_f32_e32 v67, 0xbf29c268, v67
	v_add_f32_e32 v38, v68, v38
	v_fma_f32 v68, v62, s18, -v67
	v_fmac_f32_e32 v70, 0x3f62ad3f, v63
	v_add_f32_e32 v68, v68, v64
	v_mul_f32_e32 v64, 0xbf29c268, v66
	v_add_f32_e32 v35, v70, v35
	v_mov_b32_e32 v70, v69
	v_mov_b32_e32 v66, v64
	v_fma_f32 v64, v63, s18, -v64
	v_sub_f32_e32 v71, v13, v19
	v_fmac_f32_e32 v70, 0x3f116cb1, v63
	v_fmac_f32_e32 v66, 0xbf3f9e67, v63
	v_add_f32_e32 v20, v64, v20
	v_mul_f32_e32 v64, 0xbf6f5d39, v71
	v_add_f32_e32 v39, v70, v39
	v_add_f32_e32 v69, v66, v65
	v_fmac_f32_e32 v67, 0xbf3f9e67, v62
	v_add_f32_e32 v66, v18, v12
	v_sub_f32_e32 v70, v12, v18
	v_mov_b32_e32 v72, v64
	v_add_f32_e32 v21, v67, v21
	v_add_f32_e32 v67, v19, v13
	v_mul_f32_e32 v65, 0xbf6f5d39, v70
	v_fmac_f32_e32 v72, 0xbeb58ec6, v66
	v_add_f32_e32 v22, v72, v22
	v_fma_f32 v72, v67, s17, -v65
	v_add_f32_e32 v23, v72, v23
	v_mul_f32_e32 v72, 0x3f29c268, v71
	v_fma_f32 v73, v66, s18, -v72
	v_add_f32_e32 v25, v73, v25
	v_mul_f32_e32 v73, 0x3f29c268, v70
	v_fmac_f32_e32 v72, 0xbf3f9e67, v66
	v_add_f32_e32 v24, v72, v24
	v_fma_f32 v72, v67, s18, -v73
	v_add_f32_e32 v26, v72, v26
	v_mul_f32_e32 v72, 0x3eedf032, v71
	v_mov_b32_e32 v74, v73
	v_fma_f32 v73, v66, s16, -v72
	v_add_f32_e32 v29, v73, v29
	v_mul_f32_e32 v73, 0x3eedf032, v70
	v_fmac_f32_e32 v72, 0x3f62ad3f, v66
	v_add_f32_e32 v28, v72, v28
	v_fma_f32 v72, v67, s16, -v73
	v_fmac_f32_e32 v74, 0xbf3f9e67, v67
	v_add_f32_e32 v30, v72, v30
	v_mul_f32_e32 v72, 0xbf7e222b, v71
	v_add_f32_e32 v27, v74, v27
	v_mov_b32_e32 v74, v73
	v_fma_f32 v73, v66, s12, -v72
	v_add_f32_e32 v33, v73, v33
	v_mul_f32_e32 v73, 0xbf7e222b, v70
	v_fmac_f32_e32 v72, 0x3df6dbef, v66
	v_add_f32_e32 v32, v72, v32
	v_fma_f32 v72, v67, s12, -v73
	v_fmac_f32_e32 v74, 0x3f62ad3f, v67
	v_add_f32_e32 v34, v72, v34
	v_mul_f32_e32 v72, 0x3e750f2a, v71
	v_add_f32_e32 v31, v74, v31
	v_mov_b32_e32 v74, v73
	v_fma_f32 v73, v66, s19, -v72
	v_add_f32_e32 v37, v73, v37
	v_mul_f32_e32 v73, 0x3e750f2a, v70
	v_fmac_f32_e32 v72, 0xbf788fa5, v66
	v_add_f32_e32 v36, v72, v36
	v_fma_f32 v72, v67, s19, -v73
	v_mul_f32_e32 v71, 0x3f52af12, v71
	v_add_f32_e32 v38, v72, v38
	v_fma_f32 v72, v66, s13, -v71
	v_fmac_f32_e32 v74, 0x3df6dbef, v67
	v_add_f32_e32 v72, v72, v68
	v_mul_f32_e32 v68, 0x3f52af12, v70
	v_add_f32_e32 v35, v74, v35
	v_mov_b32_e32 v74, v73
	v_mov_b32_e32 v70, v68
	v_fma_f32 v68, v67, s13, -v68
	v_sub_f32_e32 v75, v15, v17
	v_fmac_f32_e32 v74, 0xbf788fa5, v67
	v_fmac_f32_e32 v70, 0x3f116cb1, v67
	v_add_f32_e32 v20, v68, v20
	v_mul_f32_e32 v68, 0xbf29c268, v75
	v_add_f32_e32 v39, v74, v39
	v_add_f32_e32 v73, v70, v69
	v_fmac_f32_e32 v71, 0x3f116cb1, v66
	v_add_f32_e32 v70, v16, v14
	v_sub_f32_e32 v74, v14, v16
	v_mov_b32_e32 v97, v68
	v_add_f32_e32 v21, v71, v21
	v_add_f32_e32 v71, v17, v15
	v_mul_f32_e32 v69, 0xbf29c268, v74
	v_fmac_f32_e32 v97, 0xbf3f9e67, v70
	v_add_f32_e32 v22, v97, v22
	v_fma_f32 v97, v71, s18, -v69
	v_add_f32_e32 v23, v97, v23
	v_mul_f32_e32 v97, 0x3f7e222b, v75
	v_fma_f32 v98, v70, s12, -v97
	v_add_f32_e32 v25, v98, v25
	v_mul_f32_e32 v98, 0x3f7e222b, v74
	v_fmac_f32_e32 v97, 0x3df6dbef, v70
	v_add_f32_e32 v24, v97, v24
	v_fma_f32 v97, v71, s12, -v98
	v_add_f32_e32 v26, v97, v26
	v_mul_f32_e32 v97, 0xbf52af12, v75
	v_mov_b32_e32 v99, v98
	v_fma_f32 v98, v70, s13, -v97
	v_fmac_f32_e32 v99, 0x3df6dbef, v71
	v_add_f32_e32 v29, v98, v29
	v_mul_f32_e32 v98, 0xbf52af12, v74
	v_add_f32_e32 v27, v99, v27
	v_mov_b32_e32 v99, v98
	v_fmac_f32_e32 v99, 0x3f116cb1, v71
	v_add_f32_e32 v99, v99, v31
	v_fmac_f32_e32 v97, 0x3f116cb1, v70
	v_fma_f32 v31, v71, s13, -v98
	v_add_f32_e32 v28, v97, v28
	v_add_f32_e32 v97, v31, v30
	v_mul_f32_e32 v30, 0x3e750f2a, v75
	v_fma_f32 v31, v70, s19, -v30
	v_add_f32_e32 v33, v31, v33
	v_mul_f32_e32 v31, 0x3e750f2a, v74
	v_mov_b32_e32 v98, v31
	v_fmac_f32_e32 v30, 0xbf788fa5, v70
	v_fmac_f32_e32 v98, 0xbf788fa5, v71
	v_add_f32_e32 v32, v30, v32
	v_fma_f32 v30, v71, s19, -v31
	v_add_f32_e32 v35, v98, v35
	v_add_f32_e32 v98, v30, v34
	v_mul_f32_e32 v30, 0x3eedf032, v75
	v_fma_f32 v31, v70, s16, -v30
	v_add_f32_e32 v37, v31, v37
	v_mul_f32_e32 v31, 0x3eedf032, v74
	v_fmac_f32_e32 v30, 0x3f62ad3f, v70
	v_add_f32_e32 v36, v30, v36
	v_fma_f32 v30, v71, s16, -v31
	v_add_f32_e32 v38, v30, v38
	v_mul_f32_e32 v30, 0xbf6f5d39, v75
	v_mov_b32_e32 v34, v31
	v_fma_f32 v31, v70, s17, -v30
	v_fmac_f32_e32 v34, 0x3f62ad3f, v71
	v_add_f32_e32 v100, v31, v72
	v_mul_f32_e32 v31, 0xbf6f5d39, v74
	v_fmac_f32_e32 v30, 0xbeb58ec6, v70
	v_sub_f32_e32 v105, v5, v7
	v_add_f32_e32 v39, v34, v39
	v_mov_b32_e32 v34, v31
	v_add_f32_e32 v102, v30, v21
	v_fma_f32 v21, v71, s17, -v31
	v_mul_f32_e32 v72, 0xbe750f2a, v105
	v_fmac_f32_e32 v34, 0xbeb58ec6, v71
	v_add_f32_e32 v103, v21, v20
	v_add_f32_e32 v74, v6, v4
	v_sub_f32_e32 v104, v4, v6
	v_mov_b32_e32 v20, v72
	v_add_f32_e32 v101, v34, v73
	v_add_f32_e32 v75, v7, v5
	v_mul_f32_e32 v73, 0xbe750f2a, v104
	v_fmac_f32_e32 v20, 0xbf788fa5, v74
	v_add_f32_e32 v157, v20, v22
	v_fma_f32 v20, v75, s19, -v73
	v_mul_f32_e32 v22, 0x3eedf032, v105
	v_add_f32_e32 v158, v20, v23
	v_fma_f32 v20, v74, s16, -v22
	v_mul_f32_e32 v23, 0x3eedf032, v104
	v_fmac_f32_e32 v22, 0x3f62ad3f, v74
	v_add_f32_e32 v30, v22, v24
	v_fma_f32 v22, v75, s16, -v23
	v_mul_f32_e32 v24, 0xbf29c268, v105
	v_add_f32_e32 v20, v20, v25
	v_add_f32_e32 v31, v22, v26
	v_fma_f32 v22, v74, s18, -v24
	v_mul_f32_e32 v25, 0xbf29c268, v104
	v_fmac_f32_e32 v24, 0xbf3f9e67, v74
	v_mov_b32_e32 v21, v23
	v_add_f32_e32 v28, v24, v28
	v_fma_f32 v24, v75, s18, -v25
	v_mul_f32_e32 v26, 0x3f52af12, v105
	v_fmac_f32_e32 v21, 0x3f62ad3f, v75
	v_add_f32_e32 v22, v22, v29
	v_add_f32_e32 v29, v24, v97
	v_fma_f32 v24, v74, s13, -v26
	v_add_f32_e32 v21, v21, v27
	v_add_f32_e32 v24, v24, v33
	v_mul_f32_e32 v27, 0x3f52af12, v104
	v_fmac_f32_e32 v26, 0x3f116cb1, v74
	v_mul_f32_e32 v33, 0xbf6f5d39, v104
	v_mov_b32_e32 v23, v25
	v_mov_b32_e32 v25, v27
	v_add_f32_e32 v34, v26, v32
	v_fma_f32 v26, v75, s13, -v27
	v_mov_b32_e32 v27, v33
	v_fmac_f32_e32 v25, 0x3f116cb1, v75
	v_mul_f32_e32 v32, 0xbf6f5d39, v105
	v_fmac_f32_e32 v27, 0xbeb58ec6, v75
	v_add_f32_e32 v25, v25, v35
	v_add_f32_e32 v35, v26, v98
	v_fma_f32 v26, v74, s17, -v32
	v_add_f32_e32 v27, v27, v39
	v_fma_f32 v33, v75, s17, -v33
	v_mul_f32_e32 v39, 0x3f7e222b, v104
	s_movk_i32 s14, 0x75
	v_add_f32_e32 v26, v26, v37
	v_fmac_f32_e32 v32, 0xbeb58ec6, v74
	v_add_f32_e32 v33, v33, v38
	v_mul_f32_e32 v38, 0x3f7e222b, v105
	v_mov_b32_e32 v37, v39
	v_add_co_u32_e32 v80, vcc, s14, v162
	v_fmac_f32_e32 v23, 0xbf3f9e67, v75
	v_add_f32_e32 v32, v32, v36
	v_fma_f32 v36, v74, s12, -v38
	v_fmac_f32_e32 v37, 0x3df6dbef, v75
	v_fmac_f32_e32 v38, 0x3df6dbef, v74
	v_fma_f32 v39, v75, s12, -v39
	v_mul_lo_u16_e32 v97, 13, v162
	v_add_f32_e32 v23, v23, v99
	v_add_f32_e32 v36, v36, v100
	;; [unrolled: 1-line block ×5, first 2 shown]
	v_lshlrev_b32_e32 v177, 3, v97
	v_mul_u32_u24_e32 v163, 13, v80
	s_barrier
	ds_write2_b64 v177, v[50:51], v[76:77] offset1:1
	ds_write2_b64 v177, v[78:79], v[81:82] offset0:2 offset1:3
	ds_write2_b64 v177, v[85:86], v[89:90] offset0:4 offset1:5
	;; [unrolled: 1-line block ×5, first 2 shown]
	ds_write_b64 v177, v[44:45] offset:96
	s_and_saveexec_b64 s[12:13], s[0:1]
	s_cbranch_execz .LBB0_7
; %bb.6:
	v_mul_f32_e32 v44, 0x3f62ad3f, v54
	v_mul_f32_e32 v45, 0x3f62ad3f, v55
	v_add_f32_e32 v45, v53, v45
	v_sub_f32_e32 v44, v44, v52
	v_add_f32_e32 v45, v45, v1
	v_add_f32_e32 v44, v44, v0
	;; [unrolled: 1-line block ×12, first 2 shown]
	v_mul_f32_e32 v46, 0x3f116cb1, v58
	v_mul_f32_e32 v47, 0x3f116cb1, v59
	v_add_f32_e32 v1, v5, v1
	v_add_f32_e32 v0, v4, v0
	v_mul_f32_e32 v50, 0x3df6dbef, v62
	v_mul_f32_e32 v51, 0x3df6dbef, v63
	v_add_f32_e32 v47, v57, v47
	v_sub_f32_e32 v46, v46, v56
	v_add_f32_e32 v1, v7, v1
	v_add_f32_e32 v0, v6, v0
	v_mul_f32_e32 v54, 0xbeb58ec6, v66
	v_mul_f32_e32 v55, 0xbeb58ec6, v67
	v_add_f32_e32 v45, v47, v45
	v_add_f32_e32 v47, v61, v51
	v_add_f32_e32 v44, v46, v44
	v_sub_f32_e32 v46, v50, v60
	v_add_f32_e32 v1, v17, v1
	v_add_f32_e32 v0, v16, v0
	v_mul_f32_e32 v58, 0xbf3f9e67, v70
	v_mul_f32_e32 v59, 0xbf3f9e67, v71
	v_add_f32_e32 v45, v47, v45
	v_add_f32_e32 v47, v65, v55
	;; [unrolled: 8-line block ×3, first 2 shown]
	v_add_f32_e32 v44, v46, v44
	v_sub_f32_e32 v46, v58, v68
	v_add_f32_e32 v1, v41, v1
	v_add_f32_e32 v0, v40, v0
	;; [unrolled: 1-line block ×5, first 2 shown]
	v_sub_f32_e32 v46, v62, v72
	v_add_f32_e32 v1, v43, v1
	v_add_f32_e32 v0, v42, v0
	;; [unrolled: 1-line block ×6, first 2 shown]
	v_lshlrev_b32_e32 v2, 3, v163
	ds_write2_b64 v2, v[0:1], v[44:45] offset1:1
	ds_write2_b64 v2, v[20:21], v[22:23] offset0:2 offset1:3
	ds_write2_b64 v2, v[24:25], v[26:27] offset0:4 offset1:5
	;; [unrolled: 1-line block ×5, first 2 shown]
	ds_write_b64 v2, v[157:158] offset:96
.LBB0_7:
	s_or_b64 exec, exec, s[12:13]
	s_movk_i32 s12, 0x4f
	v_mul_lo_u16_sdwa v0, v162, s12 dst_sel:DWORD dst_unused:UNUSED_PAD src0_sel:BYTE_0 src1_sel:DWORD
	v_lshrrev_b16_e32 v71, 10, v0
	v_mul_lo_u16_e32 v0, 13, v71
	v_sub_u16_e32 v0, v162, v0
	v_and_b32_e32 v73, 0xff, v0
	v_mul_lo_u16_sdwa v0, v80, s12 dst_sel:DWORD dst_unused:UNUSED_PAD src0_sel:BYTE_0 src1_sel:DWORD
	v_lshrrev_b16_e32 v74, 10, v0
	v_mul_lo_u16_e32 v0, 13, v74
	v_sub_u16_e32 v0, v80, v0
	v_add_co_u32_e32 v84, vcc, 0xea, v162
	v_lshlrev_b32_e32 v8, 4, v73
	v_and_b32_e32 v75, 0xff, v0
	s_movk_i32 s12, 0x4ec5
	v_add_u32_e32 v72, 0x1d4, v162
	s_waitcnt lgkmcnt(0)
	s_barrier
	v_lshlrev_b32_e32 v9, 4, v75
	global_load_dwordx4 v[4:7], v8, s[4:5]
	global_load_dwordx4 v[0:3], v9, s[4:5]
	v_mul_u32_u24_sdwa v8, v84, s12 dst_sel:DWORD dst_unused:UNUSED_PAD src0_sel:WORD_0 src1_sel:DWORD
	v_mul_u32_u24_sdwa v16, v72, s12 dst_sel:DWORD dst_unused:UNUSED_PAD src0_sel:WORD_0 src1_sel:DWORD
	v_add_u32_e32 v68, 0x15f, v162
	v_lshrrev_b32_e32 v76, 18, v8
	v_lshrrev_b32_e32 v81, 18, v16
	v_mul_lo_u16_e32 v8, 13, v76
	v_mul_u32_u24_sdwa v9, v68, s12 dst_sel:DWORD dst_unused:UNUSED_PAD src0_sel:WORD_0 src1_sel:DWORD
	v_mul_lo_u16_e32 v16, 13, v81
	v_sub_u16_e32 v77, v84, v8
	v_lshrrev_b32_e32 v78, 18, v9
	v_sub_u16_e32 v82, v72, v16
	v_lshlrev_b16_e32 v8, 1, v77
	v_mul_lo_u16_e32 v9, 13, v78
	v_lshlrev_b16_e32 v16, 1, v82
	v_lshlrev_b32_e32 v8, 3, v8
	v_sub_u16_e32 v79, v68, v9
	v_lshlrev_b32_e32 v16, 3, v16
	global_load_dwordx4 v[12:15], v8, s[4:5]
	ds_read2_b64 v[40:43], v161 offset1:117
	global_load_dwordx4 v[16:19], v16, s[4:5]
	v_lshlrev_b16_e32 v8, 1, v79
	v_lshlrev_b32_e32 v8, 3, v8
	global_load_dwordx4 v[8:11], v8, s[4:5]
	v_add_u32_e32 v107, 0xc00, v161
	v_add_u32_e32 v106, 0x2400, v161
	;; [unrolled: 1-line block ×6, first 2 shown]
	ds_read_b64 v[69:70], v161 offset:13104
	ds_read2_b64 v[44:47], v107 offset0:84 offset1:201
	ds_read2_b64 v[48:51], v106 offset0:18 offset1:135
	;; [unrolled: 1-line block ×6, first 2 shown]
	v_mul_u32_u24_e32 v71, 39, v71
	v_add_lshl_u32 v164, v71, v73, 3
	s_waitcnt vmcnt(0) lgkmcnt(0)
	s_barrier
	s_movk_i32 s12, 0xa5
	v_mov_b32_e32 v105, s5
	v_mul_f32_e32 v83, v47, v5
	v_mul_f32_e32 v86, v49, v7
	v_mul_f32_e32 v85, v46, v5
	v_mul_f32_e32 v89, v52, v1
	v_mul_f32_e32 v90, v51, v3
	v_fma_f32 v83, v46, v4, -v83
	v_fma_f32 v86, v48, v6, -v86
	v_mul_f32_e32 v87, v48, v7
	v_mul_f32_e32 v88, v53, v1
	v_fmac_f32_e32 v85, v47, v4
	v_fmac_f32_e32 v89, v53, v0
	v_fma_f32 v53, v50, v2, -v90
	v_add_f32_e32 v47, v83, v86
	v_fmac_f32_e32 v87, v49, v6
	v_add_f32_e32 v49, v85, v87
	v_mul_f32_e32 v91, v50, v3
	v_fma_f32 v88, v52, v0, -v88
	v_fmac_f32_e32 v91, v51, v2
	v_sub_f32_e32 v50, v83, v86
	v_mul_f32_e32 v92, v55, v13
	v_mul_f32_e32 v94, v61, v15
	;; [unrolled: 1-line block ×3, first 2 shown]
	v_fma_f32 v90, v54, v12, -v92
	v_fma_f32 v92, v60, v14, -v94
	v_mul_f32_e32 v96, v65, v9
	v_fma_f32 v94, v64, v8, -v96
	v_fma_f32 v96, v66, v16, -v46
	v_mul_f32_e32 v46, v70, v19
	v_fma_f32 v100, v69, v18, -v46
	v_add_f32_e32 v46, v40, v83
	v_fma_f32 v40, -0.5, v47, v40
	v_sub_f32_e32 v47, v85, v87
	v_mov_b32_e32 v48, v40
	v_fmac_f32_e32 v48, 0x3f5db3d7, v47
	v_fmac_f32_e32 v40, 0xbf5db3d7, v47
	v_add_f32_e32 v47, v41, v85
	v_fma_f32 v41, -0.5, v49, v41
	v_mov_b32_e32 v49, v41
	v_add_f32_e32 v51, v88, v53
	v_fmac_f32_e32 v49, 0xbf5db3d7, v50
	v_fmac_f32_e32 v41, 0x3f5db3d7, v50
	v_add_f32_e32 v50, v42, v88
	v_fma_f32 v42, -0.5, v51, v42
	v_mul_f32_e32 v93, v54, v13
	v_add_f32_e32 v46, v46, v86
	v_add_f32_e32 v47, v47, v87
	v_sub_f32_e32 v51, v89, v91
	v_mov_b32_e32 v52, v42
	v_add_f32_e32 v54, v89, v91
	v_fmac_f32_e32 v52, 0x3f5db3d7, v51
	v_fmac_f32_e32 v42, 0xbf5db3d7, v51
	v_add_f32_e32 v51, v43, v89
	v_fmac_f32_e32 v43, -0.5, v54
	ds_write2_b64 v164, v[46:47], v[48:49] offset1:13
	ds_write_b64 v164, v[40:41] offset:208
	v_mul_u32_u24_e32 v40, 39, v74
	v_mul_f32_e32 v95, v60, v15
	v_fmac_f32_e32 v93, v55, v12
	v_add_f32_e32 v50, v50, v53
	v_sub_f32_e32 v54, v88, v53
	v_mov_b32_e32 v53, v43
	v_add_f32_e32 v55, v90, v92
	v_add_lshl_u32 v165, v40, v75, 3
	v_mad_legacy_u16 v40, v76, 39, v77
	v_fmac_f32_e32 v95, v61, v14
	v_fmac_f32_e32 v53, 0xbf5db3d7, v54
	v_fmac_f32_e32 v43, 0x3f5db3d7, v54
	v_add_f32_e32 v54, v56, v90
	v_fma_f32 v56, -0.5, v55, v56
	v_lshlrev_b32_e32 v166, 3, v40
	v_mad_legacy_u16 v40, v78, 39, v79
	v_mul_f32_e32 v97, v64, v9
	v_mul_f32_e32 v98, v63, v11
	v_sub_f32_e32 v55, v93, v95
	v_mov_b32_e32 v60, v56
	v_add_f32_e32 v61, v93, v95
	v_lshlrev_b32_e32 v167, 3, v40
	v_mad_legacy_u16 v40, v81, 39, v82
	v_mul_f32_e32 v99, v62, v11
	v_fmac_f32_e32 v97, v65, v8
	v_fma_f32 v65, v62, v10, -v98
	v_fmac_f32_e32 v60, 0x3f5db3d7, v55
	v_fmac_f32_e32 v56, 0xbf5db3d7, v55
	v_add_f32_e32 v55, v57, v93
	v_fma_f32 v57, -0.5, v61, v57
	v_lshlrev_b32_e32 v168, 3, v40
	v_mul_lo_u16_sdwa v40, v162, s12 dst_sel:DWORD dst_unused:UNUSED_PAD src0_sel:BYTE_0 src1_sel:DWORD
	v_fmac_f32_e32 v99, v63, v10
	v_sub_f32_e32 v62, v90, v92
	v_mov_b32_e32 v61, v57
	v_add_f32_e32 v63, v94, v65
	v_sub_u16_sdwa v41, v162, v40 dst_sel:DWORD dst_unused:UNUSED_PAD src0_sel:DWORD src1_sel:BYTE_1
	v_fmac_f32_e32 v61, 0xbf5db3d7, v62
	v_fmac_f32_e32 v57, 0x3f5db3d7, v62
	v_add_f32_e32 v62, v58, v94
	v_fma_f32 v58, -0.5, v63, v58
	v_lshrrev_b16_e32 v41, 1, v41
	v_mul_f32_e32 v98, v66, v17
	v_sub_f32_e32 v63, v97, v99
	v_mov_b32_e32 v64, v58
	v_add_f32_e32 v66, v97, v99
	v_and_b32_e32 v41, 0x7f, v41
	v_add_f32_e32 v51, v51, v91
	v_fmac_f32_e32 v64, 0x3f5db3d7, v63
	v_fmac_f32_e32 v58, 0xbf5db3d7, v63
	v_add_f32_e32 v63, v59, v97
	v_fmac_f32_e32 v59, -0.5, v66
	v_add_u16_sdwa v40, v41, v40 dst_sel:DWORD dst_unused:UNUSED_PAD src0_sel:DWORD src1_sel:BYTE_1
	v_mul_lo_u16_sdwa v41, v80, s12 dst_sel:DWORD dst_unused:UNUSED_PAD src0_sel:BYTE_0 src1_sel:DWORD
	v_fmac_f32_e32 v98, v67, v16
	v_mul_f32_e32 v101, v69, v19
	v_add_f32_e32 v62, v62, v65
	v_sub_f32_e32 v66, v94, v65
	v_mov_b32_e32 v65, v59
	v_add_f32_e32 v67, v96, v100
	ds_write2_b64 v165, v[50:51], v[52:53] offset1:13
	ds_write_b64 v165, v[42:43] offset:208
	v_sub_u16_sdwa v42, v80, v41 dst_sel:DWORD dst_unused:UNUSED_PAD src0_sel:DWORD src1_sel:BYTE_1
	v_fmac_f32_e32 v101, v70, v18
	v_fmac_f32_e32 v65, 0xbf5db3d7, v66
	;; [unrolled: 1-line block ×3, first 2 shown]
	v_add_f32_e32 v66, v44, v96
	v_fma_f32 v44, -0.5, v67, v44
	v_lshrrev_b16_e32 v42, 1, v42
	v_sub_f32_e32 v67, v98, v101
	v_mov_b32_e32 v69, v44
	v_add_f32_e32 v70, v98, v101
	v_and_b32_e32 v42, 0x7f, v42
	s_mov_b32 s12, 0xa41b
	v_fmac_f32_e32 v69, 0x3f5db3d7, v67
	v_fmac_f32_e32 v44, 0xbf5db3d7, v67
	v_add_f32_e32 v67, v45, v98
	v_fmac_f32_e32 v45, -0.5, v70
	v_add_u16_sdwa v41, v42, v41 dst_sel:DWORD dst_unused:UNUSED_PAD src0_sel:DWORD src1_sel:BYTE_1
	v_mul_u32_u24_sdwa v48, v84, s12 dst_sel:DWORD dst_unused:UNUSED_PAD src0_sel:WORD_0 src1_sel:DWORD
	v_sub_f32_e32 v83, v96, v100
	v_mov_b32_e32 v70, v45
	v_lshrrev_b16_e32 v40, 5, v40
	v_lshrrev_b16_e32 v41, 5, v41
	v_sub_u16_sdwa v49, v84, v48 dst_sel:DWORD dst_unused:UNUSED_PAD src0_sel:DWORD src1_sel:WORD_1
	v_fmac_f32_e32 v70, 0xbf5db3d7, v83
	v_fmac_f32_e32 v45, 0x3f5db3d7, v83
	v_and_b32_e32 v71, 7, v40
	v_and_b32_e32 v83, 7, v41
	v_lshrrev_b16_e32 v49, 1, v49
	v_mul_u32_u24_sdwa v52, v68, s12 dst_sel:DWORD dst_unused:UNUSED_PAD src0_sel:WORD_0 src1_sel:DWORD
	v_add_f32_e32 v54, v54, v92
	v_add_f32_e32 v55, v55, v95
	v_mul_lo_u16_e32 v40, 39, v71
	v_mul_lo_u16_e32 v41, 39, v83
	v_add_u16_sdwa v48, v49, v48 dst_sel:DWORD dst_unused:UNUSED_PAD src0_sel:DWORD src1_sel:WORD_1
	v_sub_u16_sdwa v53, v68, v52 dst_sel:DWORD dst_unused:UNUSED_PAD src0_sel:DWORD src1_sel:WORD_1
	ds_write2_b64 v166, v[54:55], v[60:61] offset1:13
	ds_write_b64 v166, v[56:57] offset:208
	v_sub_u16_e32 v40, v162, v40
	v_sub_u16_e32 v41, v80, v41
	v_lshrrev_b16_e32 v102, 5, v48
	v_lshrrev_b16_e32 v53, 1, v53
	v_mul_u32_u24_sdwa v56, v72, s12 dst_sel:DWORD dst_unused:UNUSED_PAD src0_sel:WORD_0 src1_sel:DWORD
	v_add_f32_e32 v67, v67, v101
	v_and_b32_e32 v79, 0xff, v40
	v_and_b32_e32 v101, 0xff, v41
	v_mul_lo_u16_e32 v48, 39, v102
	v_add_u16_sdwa v52, v53, v52 dst_sel:DWORD dst_unused:UNUSED_PAD src0_sel:DWORD src1_sel:WORD_1
	v_sub_u16_sdwa v57, v72, v56 dst_sel:DWORD dst_unused:UNUSED_PAD src0_sel:DWORD src1_sel:WORD_1
	v_add_f32_e32 v63, v63, v99
	v_add_f32_e32 v66, v66, v100
	v_lshlrev_b32_e32 v40, 4, v79
	v_lshlrev_b32_e32 v41, 4, v101
	v_sub_u16_e32 v103, v84, v48
	v_lshrrev_b16_e32 v110, 5, v52
	v_lshrrev_b16_e32 v57, 1, v57
	ds_write2_b64 v167, v[62:63], v[64:65] offset1:13
	ds_write_b64 v167, v[58:59] offset:208
	ds_write2_b64 v168, v[66:67], v[69:70] offset1:13
	ds_write_b64 v168, v[44:45] offset:208
	s_waitcnt lgkmcnt(0)
	s_barrier
	global_load_dwordx4 v[44:47], v40, s[4:5] offset:208
	s_nop 0
	global_load_dwordx4 v[40:43], v41, s[4:5] offset:208
	v_lshlrev_b16_e32 v48, 4, v103
	v_mul_lo_u16_e32 v52, 39, v110
	v_add_u16_sdwa v56, v57, v56 dst_sel:DWORD dst_unused:UNUSED_PAD src0_sel:DWORD src1_sel:WORD_1
	v_add_co_u32_e32 v48, vcc, s4, v48
	v_sub_u16_e32 v111, v68, v52
	v_lshrrev_b16_e32 v112, 5, v56
	v_addc_co_u32_e32 v49, vcc, 0, v105, vcc
	v_lshlrev_b16_e32 v52, 4, v111
	v_mul_lo_u16_e32 v56, 39, v112
	global_load_dwordx4 v[48:51], v[48:49], off offset:208
	v_add_co_u32_e32 v52, vcc, s4, v52
	v_sub_u16_e32 v113, v72, v56
	v_addc_co_u32_e32 v53, vcc, 0, v105, vcc
	global_load_dwordx4 v[52:55], v[52:53], off offset:208
	v_lshlrev_b16_e32 v56, 4, v113
	v_add_co_u32_e32 v56, vcc, s4, v56
	v_addc_co_u32_e32 v57, vcc, 0, v105, vcc
	global_load_dwordx4 v[56:59], v[56:57], off offset:208
	ds_read2_b64 v[60:63], v161 offset1:117
	ds_read2_b64 v[64:67], v107 offset0:84 offset1:201
	ds_read2_b64 v[73:76], v106 offset0:18 offset1:135
	;; [unrolled: 1-line block ×6, first 2 shown]
	ds_read_b64 v[69:70], v161 offset:13104
	v_mul_u32_u24_sdwa v71, v71, s14 dst_sel:DWORD dst_unused:UNUSED_PAD src0_sel:WORD_0 src1_sel:DWORD
	v_add_lshl_u32 v169, v71, v79, 3
	s_waitcnt vmcnt(0) lgkmcnt(0)
	s_barrier
	s_mov_b32 s12, 0x8c09
	v_lshlrev_b32_e32 v80, 5, v80
	v_mul_f32_e32 v77, v67, v45
	v_fma_f32 v77, v66, v44, -v77
	v_mul_f32_e32 v78, v66, v45
	v_mul_f32_e32 v66, v74, v47
	v_fma_f32 v81, v73, v46, -v66
	v_mul_f32_e32 v66, v86, v41
	v_fma_f32 v82, v85, v40, -v66
	v_mul_f32_e32 v85, v85, v41
	v_mul_f32_e32 v66, v76, v43
	v_fmac_f32_e32 v85, v86, v40
	v_fma_f32 v86, v75, v42, -v66
	v_fmac_f32_e32 v78, v67, v44
	v_mul_f32_e32 v73, v73, v47
	v_mul_f32_e32 v66, v88, v49
	v_fma_f32 v115, v87, v48, -v66
	v_mul_f32_e32 v87, v87, v49
	v_mul_f32_e32 v66, v94, v51
	v_fmac_f32_e32 v87, v88, v48
	v_fma_f32 v88, v93, v50, -v66
	v_mul_f32_e32 v93, v93, v51
	v_mul_f32_e32 v66, v98, v53
	v_fmac_f32_e32 v93, v94, v50
	;; [unrolled: 4-line block ×4, first 2 shown]
	v_fma_f32 v96, v99, v56, -v66
	v_mul_f32_e32 v99, v99, v57
	v_mul_f32_e32 v66, v70, v59
	v_add_f32_e32 v67, v77, v81
	v_fmac_f32_e32 v73, v74, v46
	v_fmac_f32_e32 v99, v100, v56
	v_fma_f32 v100, v69, v58, -v66
	v_mul_f32_e32 v116, v69, v59
	v_add_f32_e32 v66, v60, v77
	v_fma_f32 v60, -0.5, v67, v60
	v_fmac_f32_e32 v116, v70, v58
	v_sub_f32_e32 v67, v78, v73
	v_mov_b32_e32 v69, v60
	v_add_f32_e32 v70, v78, v73
	v_fmac_f32_e32 v69, 0x3f5db3d7, v67
	v_fmac_f32_e32 v60, 0xbf5db3d7, v67
	v_add_f32_e32 v67, v61, v78
	v_fma_f32 v61, -0.5, v70, v61
	v_mul_f32_e32 v114, v75, v43
	v_add_f32_e32 v67, v67, v73
	v_sub_f32_e32 v73, v77, v81
	v_mov_b32_e32 v70, v61
	v_add_f32_e32 v74, v82, v86
	v_fmac_f32_e32 v114, v76, v42
	v_fmac_f32_e32 v70, 0xbf5db3d7, v73
	;; [unrolled: 1-line block ×3, first 2 shown]
	v_add_f32_e32 v73, v62, v82
	v_fma_f32 v62, -0.5, v74, v62
	v_sub_f32_e32 v74, v85, v114
	v_mov_b32_e32 v75, v62
	v_add_f32_e32 v76, v85, v114
	v_fmac_f32_e32 v75, 0x3f5db3d7, v74
	v_fmac_f32_e32 v62, 0xbf5db3d7, v74
	v_add_f32_e32 v74, v63, v85
	v_fmac_f32_e32 v63, -0.5, v76
	v_add_f32_e32 v78, v115, v88
	v_add_f32_e32 v66, v66, v81
	v_sub_f32_e32 v77, v82, v86
	v_mov_b32_e32 v76, v63
	v_fma_f32 v81, -0.5, v78, v89
	v_add_f32_e32 v82, v87, v93
	v_fmac_f32_e32 v76, 0xbf5db3d7, v77
	v_fmac_f32_e32 v63, 0x3f5db3d7, v77
	v_add_f32_e32 v77, v89, v115
	v_sub_f32_e32 v78, v87, v93
	v_mov_b32_e32 v85, v81
	v_fma_f32 v82, -0.5, v82, v90
	v_add_f32_e32 v73, v73, v86
	v_add_f32_e32 v77, v77, v88
	v_fmac_f32_e32 v85, 0x3f5db3d7, v78
	v_fmac_f32_e32 v81, 0xbf5db3d7, v78
	v_add_f32_e32 v78, v90, v87
	v_sub_f32_e32 v87, v115, v88
	v_mov_b32_e32 v86, v82
	v_add_f32_e32 v88, v94, v98
	v_fmac_f32_e32 v86, 0xbf5db3d7, v87
	v_fmac_f32_e32 v82, 0x3f5db3d7, v87
	v_add_f32_e32 v87, v91, v94
	v_fma_f32 v91, -0.5, v88, v91
	v_sub_f32_e32 v88, v97, v95
	v_mov_b32_e32 v89, v91
	v_add_f32_e32 v90, v97, v95
	v_fmac_f32_e32 v89, 0x3f5db3d7, v88
	v_fmac_f32_e32 v91, 0xbf5db3d7, v88
	v_add_f32_e32 v88, v92, v97
	v_fmac_f32_e32 v92, -0.5, v90
	v_add_f32_e32 v78, v78, v93
	v_sub_f32_e32 v93, v94, v98
	v_mov_b32_e32 v90, v92
	v_add_f32_e32 v94, v96, v100
	v_fmac_f32_e32 v90, 0xbf5db3d7, v93
	v_fmac_f32_e32 v92, 0x3f5db3d7, v93
	v_add_f32_e32 v93, v64, v96
	v_fma_f32 v64, -0.5, v94, v64
	ds_write2_b64 v169, v[66:67], v[69:70] offset1:39
	ds_write_b64 v169, v[60:61] offset:624
	v_mul_u32_u24_sdwa v60, v83, s14 dst_sel:DWORD dst_unused:UNUSED_PAD src0_sel:WORD_0 src1_sel:DWORD
	v_add_f32_e32 v88, v88, v95
	v_sub_f32_e32 v94, v99, v116
	v_mov_b32_e32 v95, v64
	v_add_f32_e32 v97, v99, v116
	v_add_lshl_u32 v170, v60, v101, 3
	v_mad_legacy_u16 v60, v102, s14, v103
	v_fmac_f32_e32 v95, 0x3f5db3d7, v94
	v_fmac_f32_e32 v64, 0xbf5db3d7, v94
	v_add_f32_e32 v94, v65, v99
	v_fmac_f32_e32 v65, -0.5, v97
	v_lshlrev_b32_e32 v171, 3, v60
	v_mad_legacy_u16 v60, v110, s14, v111
	v_sub_f32_e32 v97, v96, v100
	v_mov_b32_e32 v96, v65
	v_lshlrev_b32_e32 v172, 3, v60
	v_mad_legacy_u16 v60, v112, s14, v113
	v_add_f32_e32 v74, v74, v114
	v_add_f32_e32 v87, v87, v98
	;; [unrolled: 1-line block ×4, first 2 shown]
	v_fmac_f32_e32 v96, 0xbf5db3d7, v97
	v_lshlrev_b32_e32 v173, 3, v60
	v_fmac_f32_e32 v65, 0x3f5db3d7, v97
	ds_write2_b64 v170, v[73:74], v[75:76] offset1:39
	ds_write_b64 v170, v[62:63] offset:624
	ds_write2_b64 v171, v[77:78], v[85:86] offset1:39
	ds_write_b64 v171, v[81:82] offset:624
	;; [unrolled: 2-line block ×4, first 2 shown]
	v_mul_u32_u24_sdwa v64, v84, s12 dst_sel:DWORD dst_unused:UNUSED_PAD src0_sel:WORD_0 src1_sel:DWORD
	v_lshrrev_b32_e32 v64, 22, v64
	v_lshlrev_b32_e32 v60, 4, v162
	v_mul_lo_u16_e32 v64, 0x75, v64
	v_mul_u32_u24_sdwa v69, v68, s12 dst_sel:DWORD dst_unused:UNUSED_PAD src0_sel:WORD_0 src1_sel:DWORD
	s_waitcnt lgkmcnt(0)
	s_barrier
	global_load_dwordx4 v[60:63], v60, s[4:5] offset:832
	v_sub_u16_e32 v83, v84, v64
	v_lshrrev_b32_e32 v69, 22, v69
	v_lshlrev_b16_e32 v64, 4, v83
	v_mul_lo_u16_e32 v69, 0x75, v69
	v_mul_u32_u24_sdwa v73, v72, s12 dst_sel:DWORD dst_unused:UNUSED_PAD src0_sel:WORD_0 src1_sel:DWORD
	v_add_co_u32_e32 v64, vcc, s4, v64
	v_sub_u16_e32 v103, v68, v69
	v_lshrrev_b32_e32 v73, 22, v73
	v_addc_co_u32_e32 v65, vcc, 0, v105, vcc
	global_load_dwordx4 v[64:67], v[64:65], off offset:832
	v_lshlrev_b16_e32 v68, 4, v103
	v_mul_lo_u16_e32 v73, 0x75, v73
	v_add_co_u32_e32 v68, vcc, s4, v68
	v_sub_u16_e32 v118, v72, v73
	v_addc_co_u32_e32 v69, vcc, 0, v105, vcc
	v_lshlrev_b16_e32 v72, 4, v118
	global_load_dwordx4 v[68:71], v[68:69], off offset:832
	v_add_co_u32_e32 v72, vcc, s4, v72
	v_addc_co_u32_e32 v73, vcc, 0, v105, vcc
	global_load_dwordx4 v[72:75], v[72:73], off offset:832
	ds_read2_b64 v[76:79], v161 offset1:117
	ds_read2_b64 v[85:88], v107 offset0:84 offset1:201
	ds_read2_b64 v[89:92], v106 offset0:18 offset1:135
	;; [unrolled: 1-line block ×6, first 2 shown]
	ds_read_b64 v[81:82], v161 offset:13104
	v_lshlrev_b32_e32 v174, 3, v83
	s_waitcnt vmcnt(0) lgkmcnt(0)
	s_barrier
	v_lshlrev_b32_e32 v175, 3, v103
	v_lshlrev_b32_e32 v176, 3, v118
	;; [unrolled: 1-line block ×3, first 2 shown]
	s_movk_i32 s12, 0x1000
	v_mul_f32_e32 v101, v88, v61
	v_fma_f32 v101, v87, v60, -v101
	v_mul_f32_e32 v102, v87, v61
	v_mul_f32_e32 v87, v90, v63
	v_fmac_f32_e32 v102, v88, v60
	v_fma_f32 v88, v89, v62, -v87
	v_mul_f32_e32 v87, v94, v61
	v_fma_f32 v105, v93, v60, -v87
	v_mul_f32_e32 v93, v93, v61
	v_mul_f32_e32 v87, v92, v63
	v_fmac_f32_e32 v93, v94, v60
	v_fma_f32 v94, v91, v62, -v87
	;; [unrolled: 6-line block ×3, first 2 shown]
	v_mul_f32_e32 v96, v110, v67
	v_fmac_f32_e32 v96, v111, v66
	v_mul_f32_e32 v89, v89, v63
	v_mul_f32_e32 v87, v115, v69
	v_fma_f32 v111, v114, v68, -v87
	v_mul_f32_e32 v114, v114, v69
	v_mul_f32_e32 v87, v113, v71
	v_fmac_f32_e32 v114, v115, v68
	v_fma_f32 v115, v112, v70, -v87
	v_mul_f32_e32 v87, v117, v73
	v_mul_f32_e32 v125, v81, v75
	v_fma_f32 v124, v116, v72, -v87
	v_mul_f32_e32 v116, v116, v73
	v_mul_f32_e32 v87, v82, v75
	v_fmac_f32_e32 v125, v82, v74
	v_add_f32_e32 v82, v101, v88
	v_fmac_f32_e32 v89, v90, v62
	v_fmac_f32_e32 v116, v117, v72
	v_fma_f32 v117, v81, v74, -v87
	v_add_f32_e32 v81, v76, v101
	v_fma_f32 v76, -0.5, v82, v76
	v_sub_f32_e32 v82, v102, v89
	v_mov_b32_e32 v87, v76
	v_fmac_f32_e32 v87, 0x3f5db3d7, v82
	v_fmac_f32_e32 v76, 0xbf5db3d7, v82
	v_add_f32_e32 v82, v77, v102
	v_add_f32_e32 v82, v82, v89
	;; [unrolled: 1-line block ×3, first 2 shown]
	v_fma_f32 v77, -0.5, v89, v77
	v_mul_f32_e32 v119, v91, v63
	v_add_f32_e32 v81, v81, v88
	v_sub_f32_e32 v89, v101, v88
	v_mov_b32_e32 v88, v77
	v_add_f32_e32 v90, v105, v94
	v_fmac_f32_e32 v119, v92, v62
	v_fmac_f32_e32 v88, 0xbf5db3d7, v89
	;; [unrolled: 1-line block ×3, first 2 shown]
	v_add_f32_e32 v89, v78, v105
	v_fma_f32 v78, -0.5, v90, v78
	v_sub_f32_e32 v90, v93, v119
	v_mov_b32_e32 v91, v78
	v_add_f32_e32 v92, v93, v119
	v_add_f32_e32 v89, v89, v94
	v_fmac_f32_e32 v91, 0x3f5db3d7, v90
	v_fmac_f32_e32 v78, 0xbf5db3d7, v90
	v_add_f32_e32 v90, v79, v93
	v_fmac_f32_e32 v79, -0.5, v92
	v_sub_f32_e32 v93, v105, v94
	v_add_f32_e32 v94, v121, v123
	v_mov_b32_e32 v92, v79
	v_fma_f32 v95, -0.5, v94, v97
	v_fmac_f32_e32 v92, 0xbf5db3d7, v93
	v_fmac_f32_e32 v79, 0x3f5db3d7, v93
	v_add_f32_e32 v93, v97, v121
	v_sub_f32_e32 v94, v122, v96
	v_mov_b32_e32 v97, v95
	v_fmac_f32_e32 v97, 0x3f5db3d7, v94
	v_fmac_f32_e32 v95, 0xbf5db3d7, v94
	v_add_f32_e32 v94, v98, v122
	v_add_f32_e32 v94, v94, v96
	;; [unrolled: 1-line block ×3, first 2 shown]
	v_fma_f32 v96, -0.5, v96, v98
	v_mul_f32_e32 v112, v112, v71
	v_sub_f32_e32 v101, v121, v123
	v_mov_b32_e32 v98, v96
	v_add_f32_e32 v102, v111, v115
	v_fmac_f32_e32 v112, v113, v70
	v_fmac_f32_e32 v98, 0xbf5db3d7, v101
	;; [unrolled: 1-line block ×3, first 2 shown]
	v_add_f32_e32 v101, v99, v111
	v_fma_f32 v99, -0.5, v102, v99
	v_sub_f32_e32 v102, v114, v112
	v_mov_b32_e32 v110, v99
	v_add_f32_e32 v105, v114, v112
	v_fmac_f32_e32 v110, 0x3f5db3d7, v102
	v_fmac_f32_e32 v99, 0xbf5db3d7, v102
	v_add_f32_e32 v102, v100, v114
	v_fmac_f32_e32 v100, -0.5, v105
	v_sub_f32_e32 v105, v111, v115
	v_mov_b32_e32 v111, v100
	v_fmac_f32_e32 v111, 0xbf5db3d7, v105
	v_fmac_f32_e32 v100, 0x3f5db3d7, v105
	v_add_f32_e32 v105, v85, v124
	v_add_f32_e32 v102, v102, v112
	;; [unrolled: 1-line block ×4, first 2 shown]
	v_fma_f32 v85, -0.5, v105, v85
	v_sub_f32_e32 v105, v116, v125
	v_mov_b32_e32 v114, v85
	v_fmac_f32_e32 v114, 0x3f5db3d7, v105
	v_fmac_f32_e32 v85, 0xbf5db3d7, v105
	v_add_f32_e32 v105, v86, v116
	v_add_f32_e32 v113, v105, v125
	;; [unrolled: 1-line block ×5, first 2 shown]
	v_fmac_f32_e32 v86, -0.5, v105
	ds_write2_b64 v161, v[81:82], v[87:88] offset1:117
	ds_write2_b64 v104, v[76:77], v[89:90] offset0:106 offset1:223
	ds_write2_b64 v107, v[91:92], v[78:79] offset0:84 offset1:201
	v_add_u32_e32 v76, 0x1400, v174
	v_add_f32_e32 v101, v101, v115
	v_sub_f32_e32 v105, v124, v117
	v_mov_b32_e32 v115, v86
	ds_write2_b64 v76, v[93:94], v[97:98] offset0:62 offset1:179
	ds_write_b64 v174, v[95:96] offset:7488
	v_add_u32_e32 v76, 0x2000, v175
	v_fmac_f32_e32 v115, 0xbf5db3d7, v105
	ds_write2_b64 v76, v[101:102], v[110:111] offset0:29 offset1:146
	ds_write_b64 v175, v[99:100] offset:10296
	v_add_u32_e32 v76, 0x2800, v176
	v_fmac_f32_e32 v86, 0x3f5db3d7, v105
	ds_write2_b64 v76, v[112:113], v[114:115] offset0:124 offset1:241
	ds_write_b64 v176, v[85:86] offset:13104
	v_lshlrev_b32_e32 v76, 5, v162
	s_waitcnt lgkmcnt(0)
	s_barrier
	global_load_dwordx4 v[88:91], v76, s[4:5] offset:2704
	s_nop 0
	global_load_dwordx4 v[76:79], v76, s[4:5] offset:2720
	s_nop 0
	;; [unrolled: 2-line block ×5, first 2 shown]
	global_load_dwordx4 v[84:87], v84, s[4:5] offset:2720
	v_mov_b32_e32 v100, s15
	v_addc_co_u32_e64 v127, vcc, 0, v100, s[2:3]
	ds_read2_b64 v[110:113], v161 offset1:117
	ds_read2_b64 v[100:103], v104 offset0:106 offset1:223
	ds_read2_b64 v[114:117], v108 offset0:62 offset1:179
	;; [unrolled: 1-line block ×6, first 2 shown]
	ds_read_b64 v[118:119], v161 offset:13104
	s_movk_i32 s4, 0x3000
	s_movk_i32 s2, 0x36d8
	;; [unrolled: 1-line block ×3, first 2 shown]
	s_waitcnt vmcnt(5) lgkmcnt(6)
	v_mul_f32_e32 v105, v103, v89
	v_fma_f32 v105, v102, v88, -v105
	v_mul_f32_e32 v102, v102, v89
	v_fmac_f32_e32 v102, v103, v88
	s_waitcnt lgkmcnt(5)
	v_mul_f32_e32 v103, v115, v91
	v_fma_f32 v103, v114, v90, -v103
	v_mul_f32_e32 v125, v114, v91
	s_waitcnt vmcnt(4) lgkmcnt(4)
	v_mul_f32_e32 v114, v124, v77
	v_fma_f32 v126, v123, v76, -v114
	v_mul_f32_e32 v123, v123, v77
	s_waitcnt lgkmcnt(3)
	v_mul_f32_e32 v114, v179, v79
	v_fmac_f32_e32 v123, v124, v76
	v_fma_f32 v124, v178, v78, -v114
	s_waitcnt vmcnt(3) lgkmcnt(2)
	v_mul_f32_e32 v114, v183, v93
	v_mul_f32_e32 v159, v178, v79
	v_fma_f32 v160, v182, v92, -v114
	v_mul_f32_e32 v114, v117, v95
	v_fmac_f32_e32 v159, v179, v78
	v_fma_f32 v179, v116, v94, -v114
	s_waitcnt vmcnt(2) lgkmcnt(1)
	v_mul_f32_e32 v114, v187, v81
	v_fma_f32 v190, v186, v80, -v114
	v_mul_f32_e32 v186, v186, v81
	v_mul_f32_e32 v114, v181, v83
	v_fmac_f32_e32 v186, v187, v80
	v_fma_f32 v187, v180, v82, -v114
	s_waitcnt vmcnt(1)
	v_mul_f32_e32 v114, v185, v97
	v_fma_f32 v191, v184, v96, -v114
	v_mul_f32_e32 v192, v184, v97
	v_mul_f32_e32 v114, v122, v99
	v_fmac_f32_e32 v125, v115, v90
	v_mul_f32_e32 v182, v182, v93
	v_fmac_f32_e32 v192, v185, v96
	v_fma_f32 v185, v121, v98, -v114
	s_waitcnt vmcnt(0)
	v_mul_f32_e32 v114, v189, v85
	v_add_f32_e32 v115, v103, v126
	v_fmac_f32_e32 v182, v183, v92
	v_mul_f32_e32 v183, v116, v95
	v_fma_f32 v194, v188, v84, -v114
	v_mul_f32_e32 v188, v188, v85
	s_waitcnt lgkmcnt(0)
	v_mul_f32_e32 v114, v119, v87
	v_fma_f32 v116, -0.5, v115, v110
	v_fmac_f32_e32 v188, v189, v84
	v_fma_f32 v189, v118, v86, -v114
	v_mul_f32_e32 v195, v118, v87
	v_sub_f32_e32 v115, v102, v159
	v_mov_b32_e32 v118, v116
	v_fmac_f32_e32 v183, v117, v94
	v_mul_f32_e32 v193, v121, v99
	v_fmac_f32_e32 v195, v119, v86
	v_fmac_f32_e32 v118, 0x3f737871, v115
	v_sub_f32_e32 v117, v125, v123
	v_sub_f32_e32 v119, v105, v103
	;; [unrolled: 1-line block ×3, first 2 shown]
	v_fmac_f32_e32 v116, 0xbf737871, v115
	v_fmac_f32_e32 v118, 0x3f167918, v117
	v_add_f32_e32 v119, v119, v121
	v_fmac_f32_e32 v116, 0xbf167918, v117
	v_fmac_f32_e32 v118, 0x3e9e377a, v119
	;; [unrolled: 1-line block ×3, first 2 shown]
	v_add_f32_e32 v119, v105, v124
	v_add_f32_e32 v114, v110, v105
	v_fma_f32 v110, -0.5, v119, v110
	v_mov_b32_e32 v121, v110
	v_fmac_f32_e32 v193, v122, v98
	v_fmac_f32_e32 v121, 0xbf737871, v117
	v_sub_f32_e32 v119, v103, v105
	v_sub_f32_e32 v122, v126, v124
	v_fmac_f32_e32 v110, 0x3f737871, v117
	v_add_f32_e32 v117, v125, v123
	v_add_f32_e32 v114, v114, v103
	v_fmac_f32_e32 v121, 0x3f167918, v115
	v_add_f32_e32 v119, v119, v122
	v_fmac_f32_e32 v110, 0xbf167918, v115
	v_fma_f32 v117, -0.5, v117, v111
	v_add_f32_e32 v114, v114, v126
	v_fmac_f32_e32 v121, 0x3e9e377a, v119
	v_fmac_f32_e32 v110, 0x3e9e377a, v119
	v_sub_f32_e32 v105, v105, v124
	v_mov_b32_e32 v119, v117
	v_add_f32_e32 v114, v114, v124
	v_fmac_f32_e32 v119, 0xbf737871, v105
	v_sub_f32_e32 v103, v103, v126
	v_sub_f32_e32 v122, v102, v125
	;; [unrolled: 1-line block ×3, first 2 shown]
	v_fmac_f32_e32 v117, 0x3f737871, v105
	v_fmac_f32_e32 v119, 0xbf167918, v103
	v_add_f32_e32 v122, v122, v124
	v_fmac_f32_e32 v117, 0x3f167918, v103
	v_fmac_f32_e32 v119, 0x3e9e377a, v122
	;; [unrolled: 1-line block ×3, first 2 shown]
	v_add_f32_e32 v122, v102, v159
	v_add_f32_e32 v115, v111, v102
	v_fma_f32 v111, -0.5, v122, v111
	v_add_f32_e32 v115, v115, v125
	v_mov_b32_e32 v122, v111
	v_add_f32_e32 v115, v115, v123
	v_fmac_f32_e32 v122, 0x3f737871, v103
	v_sub_f32_e32 v102, v125, v102
	v_sub_f32_e32 v123, v123, v159
	v_fmac_f32_e32 v111, 0xbf737871, v103
	v_fmac_f32_e32 v122, 0xbf167918, v105
	v_add_f32_e32 v102, v102, v123
	v_fmac_f32_e32 v111, 0x3f167918, v105
	v_fmac_f32_e32 v122, 0x3e9e377a, v102
	;; [unrolled: 1-line block ×3, first 2 shown]
	v_add_f32_e32 v102, v112, v160
	v_add_f32_e32 v102, v102, v179
	;; [unrolled: 1-line block ×3, first 2 shown]
	v_mul_f32_e32 v180, v180, v83
	v_add_f32_e32 v123, v102, v187
	v_add_f32_e32 v102, v179, v190
	v_fmac_f32_e32 v180, v181, v82
	v_fma_f32 v125, -0.5, v102, v112
	v_add_f32_e32 v115, v115, v159
	v_sub_f32_e32 v102, v182, v180
	v_mov_b32_e32 v159, v125
	v_fmac_f32_e32 v159, 0x3f737871, v102
	v_sub_f32_e32 v103, v183, v186
	v_sub_f32_e32 v105, v160, v179
	v_sub_f32_e32 v124, v187, v190
	v_fmac_f32_e32 v125, 0xbf737871, v102
	v_fmac_f32_e32 v159, 0x3f167918, v103
	v_add_f32_e32 v105, v105, v124
	v_fmac_f32_e32 v125, 0xbf167918, v103
	v_fmac_f32_e32 v159, 0x3e9e377a, v105
	;; [unrolled: 1-line block ×3, first 2 shown]
	v_add_f32_e32 v105, v160, v187
	v_fma_f32 v112, -0.5, v105, v112
	v_mov_b32_e32 v178, v112
	v_fmac_f32_e32 v178, 0xbf737871, v103
	v_fmac_f32_e32 v112, 0x3f737871, v103
	;; [unrolled: 1-line block ×4, first 2 shown]
	v_add_f32_e32 v102, v113, v182
	v_add_f32_e32 v102, v102, v183
	v_sub_f32_e32 v105, v179, v160
	v_sub_f32_e32 v124, v190, v187
	v_add_f32_e32 v102, v102, v186
	v_add_f32_e32 v105, v105, v124
	;; [unrolled: 1-line block ×4, first 2 shown]
	v_fma_f32 v126, -0.5, v102, v113
	v_sub_f32_e32 v102, v160, v187
	v_mov_b32_e32 v160, v126
	v_fmac_f32_e32 v178, 0x3e9e377a, v105
	v_fmac_f32_e32 v112, 0x3e9e377a, v105
	;; [unrolled: 1-line block ×3, first 2 shown]
	v_sub_f32_e32 v103, v179, v190
	v_sub_f32_e32 v105, v182, v183
	;; [unrolled: 1-line block ×3, first 2 shown]
	v_fmac_f32_e32 v126, 0x3f737871, v102
	v_fmac_f32_e32 v160, 0xbf167918, v103
	v_add_f32_e32 v105, v105, v179
	v_fmac_f32_e32 v126, 0x3f167918, v103
	v_fmac_f32_e32 v160, 0x3e9e377a, v105
	;; [unrolled: 1-line block ×3, first 2 shown]
	v_add_f32_e32 v105, v182, v180
	v_fmac_f32_e32 v113, -0.5, v105
	v_mov_b32_e32 v179, v113
	v_fmac_f32_e32 v179, 0x3f737871, v103
	v_fmac_f32_e32 v113, 0xbf737871, v103
	v_fmac_f32_e32 v179, 0xbf167918, v102
	v_fmac_f32_e32 v113, 0x3f167918, v102
	v_add_f32_e32 v102, v100, v191
	v_add_f32_e32 v102, v102, v185
	v_sub_f32_e32 v105, v183, v182
	v_sub_f32_e32 v180, v186, v180
	v_add_f32_e32 v102, v102, v194
	v_add_f32_e32 v105, v105, v180
	;; [unrolled: 1-line block ×4, first 2 shown]
	v_fma_f32 v102, -0.5, v102, v100
	v_sub_f32_e32 v103, v192, v195
	v_mov_b32_e32 v182, v102
	v_fmac_f32_e32 v179, 0x3e9e377a, v105
	v_fmac_f32_e32 v113, 0x3e9e377a, v105
	;; [unrolled: 1-line block ×3, first 2 shown]
	v_sub_f32_e32 v105, v193, v188
	v_sub_f32_e32 v181, v191, v185
	;; [unrolled: 1-line block ×3, first 2 shown]
	v_fmac_f32_e32 v102, 0xbf737871, v103
	v_fmac_f32_e32 v182, 0x3f167918, v105
	v_add_f32_e32 v181, v181, v183
	v_fmac_f32_e32 v102, 0xbf167918, v105
	v_fmac_f32_e32 v182, 0x3e9e377a, v181
	;; [unrolled: 1-line block ×3, first 2 shown]
	v_add_f32_e32 v181, v191, v189
	v_fma_f32 v100, -0.5, v181, v100
	v_mov_b32_e32 v184, v100
	v_fmac_f32_e32 v184, 0xbf737871, v105
	v_fmac_f32_e32 v100, 0x3f737871, v105
	;; [unrolled: 1-line block ×4, first 2 shown]
	v_add_f32_e32 v103, v101, v192
	v_sub_f32_e32 v181, v185, v191
	v_sub_f32_e32 v183, v194, v189
	v_add_f32_e32 v103, v103, v193
	v_add_f32_e32 v181, v181, v183
	;; [unrolled: 1-line block ×3, first 2 shown]
	v_fmac_f32_e32 v184, 0x3e9e377a, v181
	v_fmac_f32_e32 v100, 0x3e9e377a, v181
	v_add_f32_e32 v181, v103, v195
	v_add_f32_e32 v103, v193, v188
	v_fma_f32 v103, -0.5, v103, v101
	v_sub_f32_e32 v105, v191, v189
	v_mov_b32_e32 v183, v103
	v_fmac_f32_e32 v183, 0xbf737871, v105
	v_sub_f32_e32 v186, v185, v194
	v_sub_f32_e32 v185, v192, v193
	;; [unrolled: 1-line block ×3, first 2 shown]
	v_fmac_f32_e32 v103, 0x3f737871, v105
	v_fmac_f32_e32 v183, 0xbf167918, v186
	v_add_f32_e32 v185, v185, v187
	v_fmac_f32_e32 v103, 0x3f167918, v186
	v_fmac_f32_e32 v183, 0x3e9e377a, v185
	;; [unrolled: 1-line block ×3, first 2 shown]
	v_add_f32_e32 v185, v192, v195
	v_fmac_f32_e32 v101, -0.5, v185
	v_mov_b32_e32 v185, v101
	v_fmac_f32_e32 v185, 0x3f737871, v186
	v_sub_f32_e32 v187, v193, v192
	v_sub_f32_e32 v188, v188, v195
	v_fmac_f32_e32 v101, 0xbf737871, v186
	v_fmac_f32_e32 v185, 0xbf167918, v105
	v_add_f32_e32 v187, v187, v188
	v_fmac_f32_e32 v101, 0x3f167918, v105
	v_fmac_f32_e32 v185, 0x3e9e377a, v187
	;; [unrolled: 1-line block ×3, first 2 shown]
	ds_write2_b64 v161, v[114:115], v[123:124] offset1:117
	ds_write2_b64 v108, v[121:122], v[178:179] offset0:62 offset1:179
	ds_write2_b64 v120, v[116:117], v[125:126] offset0:124 offset1:241
	;; [unrolled: 1-line block ×6, first 2 shown]
	ds_write_b64 v161, v[102:103] offset:13104
	v_add_co_u32_e32 v104, vcc, s4, v128
	v_addc_co_u32_e32 v105, vcc, 0, v127, vcc
	s_waitcnt lgkmcnt(0)
	s_barrier
	global_load_dwordx2 v[114:115], v[104:105], off offset:1752
	v_add_co_u32_e32 v104, vcc, s2, v128
	v_addc_co_u32_e32 v105, vcc, 0, v127, vcc
	global_load_dwordx2 v[116:117], v[104:105], off offset:1080
	global_load_dwordx2 v[118:119], v[104:105], off offset:2160
	;; [unrolled: 1-line block ×3, first 2 shown]
	s_movk_i32 s2, 0x4000
	v_add_co_u32_e32 v110, vcc, s2, v128
	v_addc_co_u32_e32 v111, vcc, 0, v127, vcc
	global_load_dwordx2 v[123:124], v[110:111], off offset:1976
	global_load_dwordx2 v[125:126], v[110:111], off offset:3056
	s_movk_i32 s2, 0x5000
	v_add_co_u32_e32 v110, vcc, s2, v128
	v_addc_co_u32_e32 v111, vcc, 0, v127, vcc
	global_load_dwordx2 v[159:160], v[110:111], off offset:40
	global_load_dwordx2 v[178:179], v[110:111], off offset:1120
	global_load_dwordx2 v[180:181], v[110:111], off offset:2200
	global_load_dwordx2 v[182:183], v[110:111], off offset:3280
	s_movk_i32 s2, 0x6000
	v_add_co_u32_e32 v110, vcc, s2, v128
	v_addc_co_u32_e32 v111, vcc, 0, v127, vcc
	global_load_dwordx2 v[184:185], v[110:111], off offset:264
	global_load_dwordx2 v[186:187], v[110:111], off offset:1344
	;; [unrolled: 1-line block ×3, first 2 shown]
	ds_read2_b64 v[110:113], v161 offset1:135
	s_waitcnt vmcnt(12) lgkmcnt(0)
	v_mul_f32_e32 v127, v111, v115
	v_mul_f32_e32 v191, v110, v115
	v_fma_f32 v190, v110, v114, -v127
	v_fmac_f32_e32 v191, v111, v114
	s_waitcnt vmcnt(11)
	v_mul_f32_e32 v110, v113, v117
	v_mul_f32_e32 v111, v112, v117
	v_fma_f32 v110, v112, v116, -v110
	v_fmac_f32_e32 v111, v113, v116
	ds_write2_b64 v161, v[190:191], v[110:111] offset1:135
	v_add_u32_e32 v110, 0x800, v161
	ds_read2_b64 v[111:114], v110 offset0:14 offset1:149
	s_waitcnt vmcnt(10) lgkmcnt(0)
	v_mul_f32_e32 v115, v112, v119
	v_fma_f32 v190, v111, v118, -v115
	v_mul_f32_e32 v191, v111, v119
	s_waitcnt vmcnt(9)
	v_mul_f32_e32 v111, v114, v122
	v_fmac_f32_e32 v191, v112, v118
	v_fma_f32 v112, v113, v121, -v111
	v_add_u32_e32 v111, 0x1000, v161
	ds_read2_b64 v[115:118], v111 offset0:28 offset1:163
	v_mul_f32_e32 v113, v113, v122
	v_fmac_f32_e32 v113, v114, v121
	ds_write2_b64 v110, v[190:191], v[112:113] offset0:14 offset1:149
	s_waitcnt vmcnt(8) lgkmcnt(1)
	v_mul_f32_e32 v112, v116, v124
	v_fma_f32 v121, v115, v123, -v112
	v_mul_f32_e32 v122, v115, v124
	v_add_u32_e32 v112, 0x1800, v161
	v_fmac_f32_e32 v122, v116, v123
	ds_read2_b64 v[113:116], v112 offset0:42 offset1:177
	s_waitcnt vmcnt(7)
	v_mul_f32_e32 v119, v118, v126
	v_fma_f32 v123, v117, v125, -v119
	v_mul_f32_e32 v124, v117, v126
	v_fmac_f32_e32 v124, v118, v125
	s_waitcnt vmcnt(6) lgkmcnt(0)
	v_mul_f32_e32 v117, v114, v160
	v_fma_f32 v117, v113, v159, -v117
	v_mul_f32_e32 v118, v113, v160
	v_add_u32_e32 v113, 0x2000, v161
	ds_write2_b64 v111, v[121:122], v[123:124] offset0:28 offset1:163
	ds_read2_b64 v[121:124], v113 offset0:56 offset1:191
	v_fmac_f32_e32 v118, v114, v159
	s_waitcnt vmcnt(5)
	v_mul_f32_e32 v114, v116, v179
	v_fma_f32 v114, v115, v178, -v114
	v_mul_f32_e32 v115, v115, v179
	v_fmac_f32_e32 v115, v116, v178
	ds_write2_b64 v112, v[117:118], v[114:115] offset0:42 offset1:177
	s_waitcnt vmcnt(4) lgkmcnt(1)
	v_mul_f32_e32 v114, v122, v181
	v_fma_f32 v118, v121, v180, -v114
	ds_read2_b64 v[114:117], v120 offset0:70 offset1:205
	v_mul_f32_e32 v119, v121, v181
	v_fmac_f32_e32 v119, v122, v180
	s_waitcnt vmcnt(3)
	v_mul_f32_e32 v121, v124, v183
	v_mul_f32_e32 v122, v123, v183
	v_fma_f32 v121, v123, v182, -v121
	v_fmac_f32_e32 v122, v124, v182
	ds_write2_b64 v113, v[118:119], v[121:122] offset0:56 offset1:191
	s_waitcnt vmcnt(2) lgkmcnt(1)
	v_mul_f32_e32 v118, v115, v185
	v_mul_f32_e32 v119, v114, v185
	v_fma_f32 v118, v114, v184, -v118
	v_fmac_f32_e32 v119, v115, v184
	ds_read_b64 v[114:115], v161 offset:12960
	s_waitcnt vmcnt(1)
	v_mul_f32_e32 v121, v117, v187
	v_mul_f32_e32 v122, v116, v187
	v_fma_f32 v121, v116, v186, -v121
	v_fmac_f32_e32 v122, v117, v186
	s_waitcnt vmcnt(0) lgkmcnt(0)
	v_mul_f32_e32 v116, v115, v189
	v_mul_f32_e32 v117, v114, v189
	v_fma_f32 v116, v114, v188, -v116
	v_fmac_f32_e32 v117, v115, v188
	ds_write2_b64 v120, v[118:119], v[121:122] offset0:70 offset1:205
	ds_write_b64 v161, v[116:117] offset:12960
	s_and_saveexec_b64 s[2:3], s[0:1]
	s_cbranch_execz .LBB0_9
; %bb.8:
	global_load_dwordx2 v[118:119], v[104:105], off offset:936
	global_load_dwordx2 v[121:122], v[104:105], off offset:2016
	;; [unrolled: 1-line block ×3, first 2 shown]
	v_add_co_u32_e32 v114, vcc, s12, v104
	v_addc_co_u32_e32 v115, vcc, 0, v105, vcc
	global_load_dwordx2 v[159:160], v[114:115], off offset:80
	global_load_dwordx2 v[190:191], v[114:115], off offset:1160
	;; [unrolled: 1-line block ×4, first 2 shown]
	v_add_co_u32_e32 v114, vcc, s5, v104
	v_addc_co_u32_e32 v115, vcc, 0, v105, vcc
	v_add_co_u32_e32 v104, vcc, s4, v104
	v_addc_co_u32_e32 v105, vcc, 0, v105, vcc
	global_load_dwordx2 v[196:197], v[114:115], off offset:304
	global_load_dwordx2 v[198:199], v[114:115], off offset:1384
	;; [unrolled: 1-line block ×5, first 2 shown]
	s_nop 0
	global_load_dwordx2 v[104:105], v[104:105], off offset:1608
	ds_read2_b64 v[114:117], v161 offset0:117 offset1:252
	v_add_u32_e32 v209, 0x2c00, v161
	s_waitcnt vmcnt(12) lgkmcnt(0)
	v_mul_f32_e32 v124, v115, v119
	v_mul_f32_e32 v123, v114, v119
	s_waitcnt vmcnt(11)
	v_mul_f32_e32 v127, v117, v122
	v_mul_f32_e32 v119, v116, v122
	v_fma_f32 v122, v114, v118, -v124
	v_fmac_f32_e32 v123, v115, v118
	v_fma_f32 v118, v116, v121, -v127
	v_fmac_f32_e32 v119, v117, v121
	ds_write2_b64 v161, v[122:123], v[118:119] offset0:117 offset1:252
	ds_read2_b64 v[114:117], v107 offset0:3 offset1:138
	ds_read2_b64 v[121:124], v108 offset0:17 offset1:152
	;; [unrolled: 1-line block ×5, first 2 shown]
	ds_read_b64 v[118:119], v161 offset:13896
	s_waitcnt vmcnt(10) lgkmcnt(5)
	v_mul_f32_e32 v207, v115, v126
	v_mul_f32_e32 v127, v114, v126
	s_waitcnt vmcnt(9)
	v_mul_f32_e32 v210, v117, v160
	v_mul_f32_e32 v206, v116, v160
	s_waitcnt vmcnt(8) lgkmcnt(4)
	v_mul_f32_e32 v211, v122, v191
	v_mul_f32_e32 v160, v121, v191
	s_waitcnt vmcnt(7)
	v_mul_f32_e32 v212, v124, v193
	v_mul_f32_e32 v191, v123, v193
	;; [unrolled: 6-line block ×5, first 2 shown]
	s_waitcnt vmcnt(0) lgkmcnt(0)
	v_mul_f32_e32 v219, v119, v105
	v_mul_f32_e32 v208, v118, v105
	v_fma_f32 v126, v114, v125, -v207
	v_fmac_f32_e32 v127, v115, v125
	v_fma_f32 v205, v116, v159, -v210
	v_fmac_f32_e32 v206, v117, v159
	;; [unrolled: 2-line block ×11, first 2 shown]
	ds_write2_b64 v107, v[126:127], v[205:206] offset0:3 offset1:138
	ds_write2_b64 v108, v[159:160], v[190:191] offset0:17 offset1:152
	;; [unrolled: 1-line block ×5, first 2 shown]
	ds_write_b64 v161, v[207:208] offset:13896
.LBB0_9:
	s_or_b64 exec, exec, s[2:3]
	s_waitcnt lgkmcnt(0)
	s_barrier
	ds_read2_b64 v[124:127], v161 offset1:135
	ds_read2_b64 v[116:119], v110 offset0:14 offset1:149
	ds_read2_b64 v[108:111], v111 offset0:28 offset1:163
	;; [unrolled: 1-line block ×5, first 2 shown]
	ds_read_b64 v[159:160], v161 offset:12960
	s_and_saveexec_b64 s[2:3], s[0:1]
	s_cbranch_execz .LBB0_11
; %bb.10:
	v_add_u32_e32 v28, 0x1c00, v161
	ds_read2_b64 v[36:39], v28 offset0:31 offset1:166
	v_add_u32_e32 v28, 0x2400, v161
	v_add_u32_e32 v20, 0xc00, v161
	;; [unrolled: 1-line block ×3, first 2 shown]
	ds_read2_b64 v[32:35], v28 offset0:45 offset1:180
	v_add_u32_e32 v28, 0x2c00, v161
	ds_read2_b64 v[100:103], v161 offset0:117 offset1:252
	ds_read2_b64 v[20:23], v20 offset0:3 offset1:138
	;; [unrolled: 1-line block ×4, first 2 shown]
	ds_read_b64 v[157:158], v161 offset:13896
.LBB0_11:
	s_or_b64 exec, exec, s[2:3]
	s_waitcnt lgkmcnt(6)
	v_add_f32_e32 v178, v124, v126
	v_add_f32_e32 v179, v125, v127
	s_waitcnt lgkmcnt(5)
	v_add_f32_e32 v178, v178, v116
	v_add_f32_e32 v179, v179, v117
	v_add_f32_e32 v178, v178, v118
	v_add_f32_e32 v179, v179, v119
	s_waitcnt lgkmcnt(4)
	v_add_f32_e32 v178, v178, v108
	v_add_f32_e32 v179, v179, v109
	;; [unrolled: 5-line block ×5, first 2 shown]
	v_add_f32_e32 v178, v178, v122
	s_waitcnt lgkmcnt(0)
	v_add_f32_e32 v181, v160, v127
	v_sub_f32_e32 v127, v127, v160
	v_add_f32_e32 v179, v179, v123
	v_add_f32_e32 v178, v178, v159
	;; [unrolled: 1-line block ×3, first 2 shown]
	v_sub_f32_e32 v126, v126, v159
	v_mul_f32_e32 v159, 0xbeedf032, v127
	v_mul_f32_e32 v184, 0xbf52af12, v127
	;; [unrolled: 1-line block ×6, first 2 shown]
	v_add_f32_e32 v179, v179, v160
	s_mov_b32 s4, 0x3f62ad3f
	v_mov_b32_e32 v160, v159
	s_mov_b32 s5, 0x3f116cb1
	v_mov_b32_e32 v185, v184
	;; [unrolled: 2-line block ×6, first 2 shown]
	v_fmac_f32_e32 v160, 0x3f62ad3f, v180
	v_mul_f32_e32 v182, 0x3f62ad3f, v181
	v_fma_f32 v159, v180, s4, -v159
	v_fmac_f32_e32 v185, 0x3f116cb1, v180
	v_mul_f32_e32 v186, 0x3f116cb1, v181
	v_fma_f32 v184, v180, s5, -v184
	v_fmac_f32_e32 v189, 0x3df6dbef, v180
	v_mul_f32_e32 v190, 0x3df6dbef, v181
	v_fma_f32 v188, v180, s12, -v188
	v_fmac_f32_e32 v193, 0xbeb58ec6, v180
	v_mul_f32_e32 v194, 0xbeb58ec6, v181
	v_fma_f32 v192, v180, s13, -v192
	v_fmac_f32_e32 v197, 0xbf3f9e67, v180
	v_mul_f32_e32 v198, 0xbf3f9e67, v181
	v_fma_f32 v196, v180, s14, -v196
	v_fmac_f32_e32 v200, 0xbf788fa5, v180
	v_mul_f32_e32 v181, 0xbf788fa5, v181
	v_fma_f32 v127, v180, s15, -v127
	v_add_f32_e32 v160, v124, v160
	v_mov_b32_e32 v183, v182
	v_add_f32_e32 v159, v124, v159
	v_add_f32_e32 v185, v124, v185
	v_mov_b32_e32 v187, v186
	v_add_f32_e32 v184, v124, v184
	;; [unrolled: 3-line block ×6, first 2 shown]
	v_add_f32_e32 v127, v123, v117
	v_sub_f32_e32 v117, v117, v123
	v_fmac_f32_e32 v183, 0x3eedf032, v126
	v_fmac_f32_e32 v182, 0xbeedf032, v126
	;; [unrolled: 1-line block ×12, first 2 shown]
	v_add_f32_e32 v126, v122, v116
	v_sub_f32_e32 v116, v116, v122
	v_mul_f32_e32 v122, 0xbf52af12, v117
	v_mov_b32_e32 v123, v122
	v_fmac_f32_e32 v123, 0x3f116cb1, v126
	v_add_f32_e32 v123, v123, v160
	v_mul_f32_e32 v160, 0x3f116cb1, v127
	v_add_f32_e32 v182, v125, v182
	v_mov_b32_e32 v180, v160
	v_fma_f32 v122, v126, s5, -v122
	v_fmac_f32_e32 v160, 0xbf52af12, v116
	v_add_f32_e32 v122, v122, v159
	v_add_f32_e32 v159, v160, v182
	v_mul_f32_e32 v160, 0xbf6f5d39, v117
	v_add_f32_e32 v183, v125, v183
	v_add_f32_e32 v187, v125, v187
	;; [unrolled: 1-line block ×11, first 2 shown]
	v_mov_b32_e32 v181, v160
	v_fma_f32 v160, v126, s13, -v160
	v_fmac_f32_e32 v180, 0x3f52af12, v116
	v_fmac_f32_e32 v181, 0xbeb58ec6, v126
	v_mul_f32_e32 v182, 0xbeb58ec6, v127
	v_add_f32_e32 v160, v160, v184
	v_mul_f32_e32 v184, 0xbe750f2a, v117
	v_add_f32_e32 v180, v180, v183
	v_add_f32_e32 v181, v181, v185
	v_mov_b32_e32 v183, v182
	v_fmac_f32_e32 v182, 0xbf6f5d39, v116
	v_mov_b32_e32 v185, v184
	v_fma_f32 v184, v126, s15, -v184
	v_fmac_f32_e32 v183, 0x3f6f5d39, v116
	v_add_f32_e32 v182, v182, v186
	v_fmac_f32_e32 v185, 0xbf788fa5, v126
	v_mul_f32_e32 v186, 0xbf788fa5, v127
	v_add_f32_e32 v184, v184, v188
	v_mul_f32_e32 v188, 0x3f29c268, v117
	v_add_f32_e32 v183, v183, v187
	v_add_f32_e32 v185, v185, v189
	v_mov_b32_e32 v187, v186
	v_fmac_f32_e32 v186, 0xbe750f2a, v116
	v_mov_b32_e32 v189, v188
	v_fma_f32 v188, v126, s14, -v188
	v_fmac_f32_e32 v187, 0x3e750f2a, v116
	v_add_f32_e32 v186, v186, v190
	v_fmac_f32_e32 v189, 0xbf3f9e67, v126
	v_mul_f32_e32 v190, 0xbf3f9e67, v127
	v_add_f32_e32 v188, v188, v192
	v_mul_f32_e32 v192, 0x3f7e222b, v117
	v_add_f32_e32 v187, v187, v191
	v_add_f32_e32 v189, v189, v193
	v_mov_b32_e32 v191, v190
	v_fmac_f32_e32 v190, 0x3f29c268, v116
	v_mov_b32_e32 v193, v192
	v_fmac_f32_e32 v191, 0xbf29c268, v116
	v_add_f32_e32 v190, v190, v194
	v_fmac_f32_e32 v193, 0x3df6dbef, v126
	v_mul_f32_e32 v194, 0x3df6dbef, v127
	v_mul_f32_e32 v127, 0x3f62ad3f, v127
	v_add_f32_e32 v191, v191, v195
	v_add_f32_e32 v193, v193, v197
	v_mov_b32_e32 v195, v194
	v_fma_f32 v192, v126, s12, -v192
	v_mul_f32_e32 v117, 0x3eedf032, v117
	v_mov_b32_e32 v197, v127
	v_fmac_f32_e32 v127, 0x3eedf032, v116
	v_fmac_f32_e32 v195, 0xbf7e222b, v116
	v_add_f32_e32 v192, v192, v196
	v_fmac_f32_e32 v194, 0x3f7e222b, v116
	v_mov_b32_e32 v196, v117
	v_fmac_f32_e32 v197, 0xbeedf032, v116
	v_fma_f32 v117, v126, s4, -v117
	v_add_f32_e32 v116, v127, v125
	v_add_f32_e32 v125, v121, v119
	v_sub_f32_e32 v119, v119, v121
	v_add_f32_e32 v117, v117, v124
	v_add_f32_e32 v124, v120, v118
	v_sub_f32_e32 v118, v118, v120
	v_mul_f32_e32 v120, 0xbf7e222b, v119
	v_mov_b32_e32 v121, v120
	v_fmac_f32_e32 v121, 0x3df6dbef, v124
	v_add_f32_e32 v121, v121, v123
	v_mul_f32_e32 v123, 0x3df6dbef, v125
	v_fmac_f32_e32 v196, 0x3f62ad3f, v126
	v_mov_b32_e32 v126, v123
	v_fma_f32 v120, v124, s12, -v120
	v_fmac_f32_e32 v123, 0xbf7e222b, v118
	v_add_f32_e32 v120, v120, v122
	v_add_f32_e32 v122, v123, v159
	v_mul_f32_e32 v123, 0xbe750f2a, v119
	v_mov_b32_e32 v127, v123
	v_fma_f32 v123, v124, s15, -v123
	v_fmac_f32_e32 v126, 0x3f7e222b, v118
	v_fmac_f32_e32 v127, 0xbf788fa5, v124
	v_mul_f32_e32 v159, 0xbf788fa5, v125
	v_add_f32_e32 v123, v123, v160
	v_mul_f32_e32 v160, 0x3f6f5d39, v119
	v_add_f32_e32 v126, v126, v180
	v_add_f32_e32 v127, v127, v181
	v_mov_b32_e32 v180, v159
	v_fmac_f32_e32 v159, 0xbe750f2a, v118
	v_mov_b32_e32 v181, v160
	v_fma_f32 v160, v124, s13, -v160
	v_fmac_f32_e32 v180, 0x3e750f2a, v118
	v_add_f32_e32 v159, v159, v182
	v_fmac_f32_e32 v181, 0xbeb58ec6, v124
	v_mul_f32_e32 v182, 0xbeb58ec6, v125
	v_add_f32_e32 v160, v160, v184
	v_mul_f32_e32 v184, 0x3eedf032, v119
	v_add_f32_e32 v180, v180, v183
	v_add_f32_e32 v181, v181, v185
	v_mov_b32_e32 v183, v182
	v_fmac_f32_e32 v182, 0x3f6f5d39, v118
	v_mov_b32_e32 v185, v184
	v_fma_f32 v184, v124, s4, -v184
	v_fmac_f32_e32 v183, 0xbf6f5d39, v118
	v_add_f32_e32 v182, v182, v186
	v_fmac_f32_e32 v185, 0x3f62ad3f, v124
	v_mul_f32_e32 v186, 0x3f62ad3f, v125
	v_add_f32_e32 v184, v184, v188
	v_mul_f32_e32 v188, 0xbf52af12, v119
	v_add_f32_e32 v183, v183, v187
	v_add_f32_e32 v185, v185, v189
	v_mov_b32_e32 v187, v186
	v_fmac_f32_e32 v186, 0x3eedf032, v118
	v_mov_b32_e32 v189, v188
	v_fma_f32 v188, v124, s5, -v188
	v_mul_f32_e32 v119, 0xbf29c268, v119
	v_fmac_f32_e32 v187, 0xbeedf032, v118
	v_add_f32_e32 v186, v186, v190
	v_fmac_f32_e32 v189, 0x3f116cb1, v124
	v_mul_f32_e32 v190, 0x3f116cb1, v125
	v_add_f32_e32 v188, v188, v192
	v_mov_b32_e32 v192, v119
	v_mul_f32_e32 v125, 0xbf3f9e67, v125
	v_fma_f32 v119, v124, s14, -v119
	v_add_f32_e32 v187, v187, v191
	v_add_f32_e32 v189, v189, v193
	v_mov_b32_e32 v191, v190
	v_mov_b32_e32 v193, v125
	v_add_f32_e32 v117, v119, v117
	v_add_f32_e32 v119, v115, v109
	v_sub_f32_e32 v109, v109, v115
	v_fmac_f32_e32 v191, 0x3f52af12, v118
	v_fmac_f32_e32 v190, 0xbf52af12, v118
	;; [unrolled: 1-line block ×4, first 2 shown]
	v_add_f32_e32 v118, v114, v108
	v_sub_f32_e32 v108, v108, v114
	v_mul_f32_e32 v114, 0xbf6f5d39, v109
	v_mov_b32_e32 v115, v114
	v_fmac_f32_e32 v115, 0xbeb58ec6, v118
	v_add_f32_e32 v115, v115, v121
	v_mul_f32_e32 v121, 0xbeb58ec6, v119
	v_fmac_f32_e32 v192, 0xbf3f9e67, v124
	v_mov_b32_e32 v124, v121
	v_fma_f32 v114, v118, s13, -v114
	v_fmac_f32_e32 v121, 0xbf6f5d39, v108
	v_add_f32_e32 v116, v125, v116
	v_fmac_f32_e32 v124, 0x3f6f5d39, v108
	v_add_f32_e32 v114, v114, v120
	v_add_f32_e32 v120, v121, v122
	v_mul_f32_e32 v121, 0x3f29c268, v109
	v_mul_f32_e32 v125, 0xbf3f9e67, v119
	v_add_f32_e32 v124, v124, v126
	v_mov_b32_e32 v122, v121
	v_mov_b32_e32 v126, v125
	v_fma_f32 v121, v118, s14, -v121
	v_fmac_f32_e32 v125, 0x3f29c268, v108
	v_fmac_f32_e32 v122, 0xbf3f9e67, v118
	v_add_f32_e32 v121, v121, v123
	v_add_f32_e32 v123, v125, v159
	v_mul_f32_e32 v125, 0x3eedf032, v109
	v_add_f32_e32 v122, v122, v127
	v_mov_b32_e32 v127, v125
	v_fma_f32 v125, v118, s4, -v125
	v_fmac_f32_e32 v126, 0xbf29c268, v108
	v_fmac_f32_e32 v127, 0x3f62ad3f, v118
	v_mul_f32_e32 v159, 0x3f62ad3f, v119
	v_add_f32_e32 v125, v125, v160
	v_mul_f32_e32 v160, 0xbf7e222b, v109
	v_add_f32_e32 v126, v126, v180
	v_add_f32_e32 v127, v127, v181
	v_mov_b32_e32 v180, v159
	v_fmac_f32_e32 v159, 0x3eedf032, v108
	v_mov_b32_e32 v181, v160
	v_fma_f32 v160, v118, s12, -v160
	v_fmac_f32_e32 v180, 0xbeedf032, v108
	v_add_f32_e32 v159, v159, v182
	v_fmac_f32_e32 v181, 0x3df6dbef, v118
	v_mul_f32_e32 v182, 0x3df6dbef, v119
	v_add_f32_e32 v160, v160, v184
	v_mul_f32_e32 v184, 0x3e750f2a, v109
	v_add_f32_e32 v180, v180, v183
	v_add_f32_e32 v181, v181, v185
	v_mov_b32_e32 v183, v182
	v_fmac_f32_e32 v182, 0xbf7e222b, v108
	v_mov_b32_e32 v185, v184
	v_fma_f32 v184, v118, s15, -v184
	v_mul_f32_e32 v109, 0x3f52af12, v109
	v_fmac_f32_e32 v183, 0x3f7e222b, v108
	v_add_f32_e32 v182, v182, v186
	v_fmac_f32_e32 v185, 0xbf788fa5, v118
	v_mul_f32_e32 v186, 0xbf788fa5, v119
	v_add_f32_e32 v184, v184, v188
	v_mov_b32_e32 v188, v109
	v_mul_f32_e32 v119, 0x3f116cb1, v119
	v_fma_f32 v109, v118, s5, -v109
	v_add_f32_e32 v183, v183, v187
	v_add_f32_e32 v185, v185, v189
	v_mov_b32_e32 v187, v186
	v_mov_b32_e32 v189, v119
	v_add_f32_e32 v109, v109, v117
	v_fmac_f32_e32 v119, 0x3f52af12, v108
	v_add_f32_e32 v117, v113, v111
	v_sub_f32_e32 v111, v111, v113
	v_fmac_f32_e32 v187, 0xbe750f2a, v108
	v_fmac_f32_e32 v186, 0x3e750f2a, v108
	;; [unrolled: 1-line block ×3, first 2 shown]
	v_add_f32_e32 v108, v119, v116
	v_add_f32_e32 v116, v112, v110
	v_sub_f32_e32 v110, v110, v112
	v_mul_f32_e32 v112, 0xbf29c268, v111
	v_mov_b32_e32 v113, v112
	v_fmac_f32_e32 v113, 0xbf3f9e67, v116
	v_add_f32_e32 v113, v113, v115
	v_mul_f32_e32 v115, 0xbf3f9e67, v117
	v_fmac_f32_e32 v188, 0x3f116cb1, v118
	v_mov_b32_e32 v118, v115
	v_fma_f32 v112, v116, s14, -v112
	v_fmac_f32_e32 v115, 0xbf29c268, v110
	v_add_f32_e32 v112, v112, v114
	v_add_f32_e32 v114, v115, v120
	v_mul_f32_e32 v115, 0x3f7e222b, v111
	v_mov_b32_e32 v119, v115
	v_fmac_f32_e32 v119, 0x3df6dbef, v116
	v_mul_f32_e32 v120, 0x3df6dbef, v117
	v_fma_f32 v115, v116, s12, -v115
	v_add_f32_e32 v119, v119, v122
	v_mov_b32_e32 v122, v120
	v_add_f32_e32 v115, v115, v121
	v_fmac_f32_e32 v120, 0x3f7e222b, v110
	v_mul_f32_e32 v121, 0xbf52af12, v111
	v_fmac_f32_e32 v118, 0x3f29c268, v110
	v_add_f32_e32 v120, v120, v123
	v_mov_b32_e32 v123, v121
	v_fma_f32 v121, v116, s5, -v121
	v_add_f32_e32 v118, v118, v124
	v_fmac_f32_e32 v122, 0xbf7e222b, v110
	v_fmac_f32_e32 v123, 0x3f116cb1, v116
	v_mul_f32_e32 v124, 0x3f116cb1, v117
	v_add_f32_e32 v121, v121, v125
	v_mul_f32_e32 v125, 0x3e750f2a, v111
	v_add_f32_e32 v122, v122, v126
	v_add_f32_e32 v123, v123, v127
	v_mov_b32_e32 v126, v124
	v_fmac_f32_e32 v124, 0xbf52af12, v110
	v_mov_b32_e32 v127, v125
	v_fma_f32 v125, v116, s15, -v125
	v_fmac_f32_e32 v126, 0x3f52af12, v110
	v_add_f32_e32 v124, v124, v159
	v_fmac_f32_e32 v127, 0xbf788fa5, v116
	v_mul_f32_e32 v159, 0xbf788fa5, v117
	v_add_f32_e32 v125, v125, v160
	v_mul_f32_e32 v160, 0x3eedf032, v111
	v_add_f32_e32 v126, v126, v180
	v_add_f32_e32 v127, v127, v181
	v_mov_b32_e32 v180, v159
	v_fmac_f32_e32 v159, 0x3e750f2a, v110
	v_mov_b32_e32 v181, v160
	v_add_f32_e32 v197, v197, v201
	v_add_f32_e32 v159, v159, v182
	v_fmac_f32_e32 v181, 0x3f62ad3f, v116
	v_mul_f32_e32 v182, 0x3f62ad3f, v117
	v_mul_f32_e32 v117, 0xbeb58ec6, v117
	v_add_f32_e32 v193, v193, v197
	v_add_f32_e32 v181, v181, v185
	v_mov_b32_e32 v185, v117
	v_add_f32_e32 v195, v195, v199
	v_add_f32_e32 v196, v196, v200
	;; [unrolled: 1-line block ×3, first 2 shown]
	v_fma_f32 v160, v116, s4, -v160
	v_mul_f32_e32 v111, 0xbf6f5d39, v111
	v_fmac_f32_e32 v185, 0x3f6f5d39, v110
	v_add_f32_e32 v194, v194, v198
	v_add_f32_e32 v191, v191, v195
	;; [unrolled: 1-line block ×3, first 2 shown]
	v_fmac_f32_e32 v180, 0xbe750f2a, v110
	v_add_f32_e32 v160, v160, v184
	v_mov_b32_e32 v184, v111
	v_add_f32_e32 v185, v185, v189
	v_add_f32_e32 v189, v107, v105
	;; [unrolled: 1-line block ×6, first 2 shown]
	v_mov_b32_e32 v183, v182
	v_fmac_f32_e32 v184, 0xbeb58ec6, v116
	v_sub_f32_e32 v191, v105, v107
	v_mul_f32_e32 v107, 0xbf788fa5, v189
	v_add_f32_e32 v186, v186, v190
	v_fmac_f32_e32 v183, 0xbeedf032, v110
	v_fmac_f32_e32 v182, 0x3eedf032, v110
	v_add_f32_e32 v184, v184, v188
	v_fmac_f32_e32 v117, 0xbf6f5d39, v110
	v_add_f32_e32 v188, v106, v104
	v_sub_f32_e32 v190, v104, v106
	v_mul_f32_e32 v106, 0xbe750f2a, v191
	v_mov_b32_e32 v105, v107
	v_mul_f32_e32 v110, 0x3eedf032, v191
	v_add_f32_e32 v183, v183, v187
	v_fma_f32 v111, v116, s13, -v111
	v_add_f32_e32 v187, v117, v108
	v_mov_b32_e32 v104, v106
	v_fmac_f32_e32 v105, 0x3e750f2a, v190
	v_fmac_f32_e32 v107, 0xbe750f2a, v190
	v_mov_b32_e32 v108, v110
	v_fma_f32 v110, v188, s4, -v110
	v_add_f32_e32 v182, v182, v186
	v_add_f32_e32 v186, v111, v109
	v_fmac_f32_e32 v104, 0xbf788fa5, v188
	v_add_f32_e32 v105, v105, v118
	v_fma_f32 v106, v188, s15, -v106
	v_add_f32_e32 v107, v107, v114
	v_mul_f32_e32 v111, 0x3f62ad3f, v189
	v_add_f32_e32 v110, v110, v115
	v_mul_f32_e32 v114, 0xbf29c268, v191
	v_mul_f32_e32 v115, 0xbf3f9e67, v189
	;; [unrolled: 1-line block ×3, first 2 shown]
	v_add_f32_e32 v104, v104, v113
	v_add_f32_e32 v106, v106, v112
	v_mov_b32_e32 v109, v111
	v_mov_b32_e32 v112, v114
	;; [unrolled: 1-line block ×4, first 2 shown]
	v_fmac_f32_e32 v108, 0x3f62ad3f, v188
	v_fmac_f32_e32 v109, 0xbeedf032, v190
	;; [unrolled: 1-line block ×5, first 2 shown]
	v_add_f32_e32 v108, v108, v119
	v_add_f32_e32 v109, v109, v122
	v_fmac_f32_e32 v111, 0x3eedf032, v190
	v_add_f32_e32 v112, v112, v123
	v_add_f32_e32 v113, v113, v126
	v_fma_f32 v114, v188, s14, -v114
	v_fmac_f32_e32 v115, 0xbf29c268, v190
	v_add_f32_e32 v116, v116, v127
	v_mul_f32_e32 v119, 0x3f116cb1, v189
	v_fma_f32 v118, v188, s5, -v118
	v_mul_f32_e32 v122, 0xbf6f5d39, v191
	v_mul_f32_e32 v123, 0xbeb58ec6, v189
	;; [unrolled: 1-line block ×4, first 2 shown]
	v_add_f32_e32 v111, v111, v120
	v_add_f32_e32 v114, v114, v121
	;; [unrolled: 1-line block ×3, first 2 shown]
	v_mov_b32_e32 v117, v119
	v_add_f32_e32 v118, v118, v125
	v_mov_b32_e32 v120, v122
	v_mov_b32_e32 v121, v123
	;; [unrolled: 1-line block ×4, first 2 shown]
	v_fmac_f32_e32 v117, 0xbf52af12, v190
	v_fmac_f32_e32 v119, 0x3f52af12, v190
	;; [unrolled: 1-line block ×4, first 2 shown]
	v_fma_f32 v122, v188, s13, -v122
	v_fmac_f32_e32 v123, 0xbf6f5d39, v190
	v_fmac_f32_e32 v124, 0x3df6dbef, v188
	;; [unrolled: 1-line block ×3, first 2 shown]
	v_fma_f32 v126, v188, s12, -v126
	v_fmac_f32_e32 v127, 0x3f7e222b, v190
	v_add_f32_e32 v117, v117, v180
	v_add_f32_e32 v119, v119, v159
	;; [unrolled: 1-line block ×10, first 2 shown]
	s_barrier
	ds_write2_b64 v177, v[178:179], v[104:105] offset1:1
	ds_write2_b64 v177, v[108:109], v[112:113] offset0:2 offset1:3
	ds_write2_b64 v177, v[116:117], v[120:121] offset0:4 offset1:5
	;; [unrolled: 1-line block ×5, first 2 shown]
	ds_write_b64 v177, v[106:107] offset:96
	s_and_saveexec_b64 s[2:3], s[0:1]
	s_cbranch_execz .LBB0_13
; %bb.12:
	v_add_f32_e32 v114, v158, v103
	v_mul_f32_e32 v116, 0xbf788fa5, v114
	v_add_f32_e32 v115, v31, v21
	v_sub_f32_e32 v117, v102, v157
	v_mov_b32_e32 v104, v116
	v_mul_f32_e32 v118, 0x3f62ad3f, v115
	v_fmac_f32_e32 v104, 0x3e750f2a, v117
	v_sub_f32_e32 v119, v20, v30
	v_mov_b32_e32 v105, v118
	v_add_f32_e32 v120, v29, v23
	v_add_f32_e32 v104, v101, v104
	v_fmac_f32_e32 v105, 0xbeedf032, v119
	v_mul_f32_e32 v121, 0xbf3f9e67, v120
	v_add_f32_e32 v104, v105, v104
	v_sub_f32_e32 v122, v22, v28
	v_mov_b32_e32 v105, v121
	v_add_f32_e32 v123, v35, v25
	v_fmac_f32_e32 v105, 0x3f29c268, v122
	v_mul_f32_e32 v124, 0x3f116cb1, v123
	v_add_f32_e32 v104, v105, v104
	v_sub_f32_e32 v125, v24, v34
	v_mov_b32_e32 v105, v124
	;; [unrolled: 6-line block ×4, first 2 shown]
	v_sub_f32_e32 v180, v103, v158
	v_fmac_f32_e32 v105, 0xbf7e222b, v178
	v_mul_f32_e32 v181, 0xbe750f2a, v180
	v_sub_f32_e32 v183, v21, v31
	v_add_f32_e32 v105, v105, v104
	v_add_f32_e32 v179, v157, v102
	v_mov_b32_e32 v104, v181
	v_mul_f32_e32 v184, 0x3eedf032, v183
	v_fmac_f32_e32 v104, 0xbf788fa5, v179
	v_add_f32_e32 v182, v30, v20
	v_mov_b32_e32 v106, v184
	v_sub_f32_e32 v186, v23, v29
	v_add_f32_e32 v104, v100, v104
	v_fmac_f32_e32 v106, 0x3f62ad3f, v182
	v_mul_f32_e32 v187, 0xbf29c268, v186
	v_add_f32_e32 v104, v106, v104
	v_add_f32_e32 v185, v28, v22
	v_mov_b32_e32 v106, v187
	v_sub_f32_e32 v189, v25, v35
	v_fmac_f32_e32 v106, 0xbf3f9e67, v185
	v_mul_f32_e32 v190, 0x3f52af12, v189
	v_add_f32_e32 v104, v106, v104
	v_add_f32_e32 v188, v34, v24
	v_mov_b32_e32 v106, v190
	v_sub_f32_e32 v192, v27, v33
	;; [unrolled: 6-line block ×3, first 2 shown]
	v_fmac_f32_e32 v106, 0xbeb58ec6, v191
	v_mul_f32_e32 v196, 0x3f7e222b, v195
	v_add_f32_e32 v104, v106, v104
	v_add_f32_e32 v194, v38, v36
	v_mov_b32_e32 v106, v196
	v_fmac_f32_e32 v106, 0x3df6dbef, v194
	v_mul_f32_e32 v197, 0xbf3f9e67, v114
	v_add_f32_e32 v104, v106, v104
	v_mov_b32_e32 v106, v197
	v_mul_f32_e32 v198, 0x3df6dbef, v115
	v_fmac_f32_e32 v106, 0x3f29c268, v117
	v_mov_b32_e32 v107, v198
	v_add_f32_e32 v106, v101, v106
	v_fmac_f32_e32 v107, 0xbf7e222b, v119
	v_mul_f32_e32 v199, 0x3f116cb1, v120
	v_add_f32_e32 v106, v107, v106
	v_mov_b32_e32 v107, v199
	v_fmac_f32_e32 v107, 0x3f52af12, v122
	v_mul_f32_e32 v200, 0xbf788fa5, v123
	v_add_f32_e32 v106, v107, v106
	v_mov_b32_e32 v107, v200
	v_fmac_f32_e32 v107, 0xbe750f2a, v125
	v_mul_f32_e32 v201, 0x3f62ad3f, v126
	v_add_f32_e32 v106, v107, v106
	v_mov_b32_e32 v107, v201
	v_fmac_f32_e32 v107, 0xbeedf032, v159
	v_mul_f32_e32 v202, 0xbeb58ec6, v160
	v_add_f32_e32 v106, v107, v106
	v_mov_b32_e32 v107, v202
	v_fmac_f32_e32 v107, 0x3f6f5d39, v178
	v_mul_f32_e32 v203, 0xbf29c268, v180
	v_add_f32_e32 v107, v107, v106
	v_mov_b32_e32 v106, v203
	v_mul_f32_e32 v204, 0x3f7e222b, v183
	v_fmac_f32_e32 v106, 0xbf3f9e67, v179
	v_mov_b32_e32 v108, v204
	v_add_f32_e32 v106, v100, v106
	v_fmac_f32_e32 v108, 0x3df6dbef, v182
	v_mul_f32_e32 v205, 0xbf52af12, v186
	v_add_f32_e32 v106, v108, v106
	v_mov_b32_e32 v108, v205
	v_fmac_f32_e32 v108, 0x3f116cb1, v185
	v_mul_f32_e32 v206, 0x3e750f2a, v189
	v_add_f32_e32 v106, v108, v106
	v_mov_b32_e32 v108, v206
	v_fmac_f32_e32 v108, 0xbf788fa5, v188
	v_mul_f32_e32 v207, 0x3eedf032, v192
	v_add_f32_e32 v106, v108, v106
	v_mov_b32_e32 v108, v207
	v_fmac_f32_e32 v108, 0x3f62ad3f, v191
	v_mul_f32_e32 v208, 0xbf6f5d39, v195
	;; [unrolled: 24-line block ×4, first 2 shown]
	v_add_f32_e32 v108, v110, v108
	v_mov_b32_e32 v110, v220
	v_fmac_f32_e32 v110, 0x3f116cb1, v194
	v_mul_f32_e32 v221, 0x3df6dbef, v114
	v_add_f32_e32 v108, v110, v108
	v_mov_b32_e32 v110, v221
	v_mul_f32_e32 v222, 0xbf788fa5, v115
	v_fmac_f32_e32 v110, 0x3f7e222b, v117
	v_mov_b32_e32 v111, v222
	v_add_f32_e32 v103, v103, v101
	v_add_f32_e32 v110, v101, v110
	v_fmac_f32_e32 v111, 0x3e750f2a, v119
	v_mul_f32_e32 v223, 0xbeb58ec6, v120
	v_add_f32_e32 v21, v21, v103
	v_add_f32_e32 v110, v111, v110
	v_mov_b32_e32 v111, v223
	v_add_f32_e32 v21, v23, v21
	v_add_f32_e32 v23, v102, v100
	v_fmac_f32_e32 v111, 0xbf6f5d39, v122
	v_mul_f32_e32 v224, 0x3f62ad3f, v123
	v_add_f32_e32 v20, v20, v23
	v_fmac_f32_e32 v116, 0xbe750f2a, v117
	v_add_f32_e32 v110, v111, v110
	v_mov_b32_e32 v111, v224
	v_add_f32_e32 v20, v22, v20
	v_add_f32_e32 v22, v101, v116
	v_fmac_f32_e32 v118, 0x3eedf032, v119
	v_fmac_f32_e32 v111, 0xbeedf032, v125
	v_mul_f32_e32 v225, 0x3f116cb1, v126
	v_add_f32_e32 v22, v118, v22
	v_fmac_f32_e32 v121, 0xbf29c268, v122
	v_add_f32_e32 v110, v111, v110
	v_mov_b32_e32 v111, v225
	v_add_f32_e32 v22, v121, v22
	v_fmac_f32_e32 v124, 0x3f52af12, v125
	v_fmac_f32_e32 v111, 0x3f52af12, v159
	v_mul_f32_e32 v226, 0xbf3f9e67, v160
	v_add_f32_e32 v22, v124, v22
	v_fmac_f32_e32 v127, 0xbf6f5d39, v159
	v_add_f32_e32 v110, v111, v110
	v_mov_b32_e32 v111, v226
	v_add_f32_e32 v22, v127, v22
	v_fmac_f32_e32 v177, 0x3f7e222b, v178
	v_fmac_f32_e32 v111, 0x3f29c268, v178
	v_mul_f32_e32 v227, 0xbf7e222b, v180
	v_add_f32_e32 v23, v177, v22
	v_fma_f32 v22, v179, s15, -v181
	v_add_f32_e32 v111, v111, v110
	v_mov_b32_e32 v110, v227
	v_mul_f32_e32 v228, 0xbe750f2a, v183
	v_add_f32_e32 v20, v24, v20
	v_add_f32_e32 v22, v100, v22
	v_fma_f32 v24, v182, s4, -v184
	v_fmac_f32_e32 v110, 0x3df6dbef, v179
	v_mov_b32_e32 v112, v228
	v_add_f32_e32 v22, v24, v22
	v_fma_f32 v24, v185, s14, -v187
	v_add_f32_e32 v110, v100, v110
	v_fmac_f32_e32 v112, 0xbf788fa5, v182
	v_mul_f32_e32 v229, 0x3f6f5d39, v186
	v_add_f32_e32 v22, v24, v22
	v_fma_f32 v24, v188, s5, -v190
	v_add_f32_e32 v110, v112, v110
	v_mov_b32_e32 v112, v229
	v_add_f32_e32 v22, v24, v22
	v_fma_f32 v24, v191, s13, -v193
	v_fmac_f32_e32 v112, 0xbeb58ec6, v185
	v_mul_f32_e32 v230, 0x3eedf032, v189
	v_add_f32_e32 v22, v24, v22
	v_fma_f32 v24, v194, s12, -v196
	v_fmac_f32_e32 v197, 0xbf29c268, v117
	v_add_f32_e32 v110, v112, v110
	v_mov_b32_e32 v112, v230
	v_add_f32_e32 v22, v24, v22
	v_add_f32_e32 v24, v101, v197
	v_fmac_f32_e32 v198, 0x3f7e222b, v119
	v_fmac_f32_e32 v112, 0x3f62ad3f, v188
	v_mul_f32_e32 v231, 0xbf52af12, v192
	v_add_f32_e32 v24, v198, v24
	v_fmac_f32_e32 v199, 0xbf52af12, v122
	v_add_f32_e32 v110, v112, v110
	v_mov_b32_e32 v112, v231
	v_add_f32_e32 v24, v199, v24
	v_fmac_f32_e32 v200, 0x3e750f2a, v125
	v_fmac_f32_e32 v112, 0x3f116cb1, v191
	v_mul_f32_e32 v232, 0xbf29c268, v195
	v_add_f32_e32 v24, v200, v24
	v_fmac_f32_e32 v201, 0x3eedf032, v159
	v_add_f32_e32 v110, v112, v110
	v_mov_b32_e32 v112, v232
	v_add_f32_e32 v24, v201, v24
	v_fmac_f32_e32 v202, 0xbf6f5d39, v178
	v_fmac_f32_e32 v112, 0xbf3f9e67, v194
	v_mul_f32_e32 v233, 0x3f116cb1, v114
	v_add_f32_e32 v21, v25, v21
	v_add_f32_e32 v25, v202, v24
	v_fma_f32 v24, v179, s14, -v203
	v_add_f32_e32 v110, v112, v110
	v_mov_b32_e32 v112, v233
	v_mul_f32_e32 v234, 0xbeb58ec6, v115
	v_add_f32_e32 v20, v26, v20
	v_add_f32_e32 v24, v100, v24
	v_fma_f32 v26, v182, s12, -v204
	v_fmac_f32_e32 v112, 0x3f52af12, v117
	v_mov_b32_e32 v113, v234
	v_add_f32_e32 v24, v26, v24
	v_fma_f32 v26, v185, s5, -v205
	v_add_f32_e32 v112, v101, v112
	v_fmac_f32_e32 v113, 0x3f6f5d39, v119
	v_mul_f32_e32 v235, 0xbf788fa5, v120
	v_add_f32_e32 v24, v26, v24
	v_fma_f32 v26, v188, s15, -v206
	v_add_f32_e32 v112, v113, v112
	v_mov_b32_e32 v113, v235
	v_add_f32_e32 v24, v26, v24
	v_fma_f32 v26, v191, s4, -v207
	v_fmac_f32_e32 v113, 0x3e750f2a, v122
	v_mul_f32_e32 v236, 0xbf3f9e67, v123
	v_add_f32_e32 v24, v26, v24
	v_fma_f32 v26, v194, s13, -v208
	v_fmac_f32_e32 v209, 0xbf6f5d39, v117
	v_add_f32_e32 v112, v113, v112
	v_mov_b32_e32 v113, v236
	v_add_f32_e32 v24, v26, v24
	v_add_f32_e32 v26, v101, v209
	v_fmac_f32_e32 v210, 0x3f29c268, v119
	v_fmac_f32_e32 v113, 0xbf29c268, v125
	v_mul_f32_e32 v237, 0x3df6dbef, v126
	v_add_f32_e32 v26, v210, v26
	v_fmac_f32_e32 v211, 0x3eedf032, v122
	v_add_f32_e32 v112, v113, v112
	v_mov_b32_e32 v113, v237
	v_add_f32_e32 v20, v36, v20
	v_add_f32_e32 v26, v211, v26
	v_fmac_f32_e32 v212, 0xbf7e222b, v125
	v_fmac_f32_e32 v113, 0xbf7e222b, v159
	v_mul_f32_e32 v238, 0x3f62ad3f, v160
	v_add_f32_e32 v20, v38, v20
	v_add_f32_e32 v26, v212, v26
	v_fmac_f32_e32 v213, 0x3e750f2a, v159
	v_add_f32_e32 v112, v113, v112
	v_mov_b32_e32 v113, v238
	v_add_f32_e32 v20, v32, v20
	v_add_f32_e32 v26, v213, v26
	v_fmac_f32_e32 v214, 0x3f52af12, v178
	v_fmac_f32_e32 v113, 0xbeedf032, v178
	v_mul_f32_e32 v239, 0xbf52af12, v180
	v_add_f32_e32 v21, v27, v21
	v_add_f32_e32 v20, v34, v20
	;; [unrolled: 1-line block ×3, first 2 shown]
	v_fma_f32 v26, v179, s13, -v215
	v_add_f32_e32 v113, v113, v112
	v_mov_b32_e32 v112, v239
	v_mul_f32_e32 v240, 0xbf6f5d39, v183
	v_add_f32_e32 v20, v28, v20
	v_add_f32_e32 v26, v100, v26
	v_fma_f32 v28, v182, s14, -v216
	v_fmac_f32_e32 v112, 0x3f116cb1, v179
	v_mov_b32_e32 v241, v240
	v_add_f32_e32 v26, v28, v26
	v_fma_f32 v28, v185, s4, -v217
	v_add_f32_e32 v112, v100, v112
	v_fmac_f32_e32 v241, 0xbeb58ec6, v182
	v_add_f32_e32 v26, v28, v26
	v_fma_f32 v28, v188, s12, -v218
	v_add_f32_e32 v112, v241, v112
	v_mul_f32_e32 v241, 0xbe750f2a, v186
	v_add_f32_e32 v26, v28, v26
	v_fma_f32 v28, v191, s15, -v219
	v_mov_b32_e32 v242, v241
	v_add_f32_e32 v26, v28, v26
	v_fma_f32 v28, v194, s5, -v220
	v_fmac_f32_e32 v221, 0xbf7e222b, v117
	v_fmac_f32_e32 v242, 0xbf788fa5, v185
	v_add_f32_e32 v26, v28, v26
	v_add_f32_e32 v28, v101, v221
	v_fmac_f32_e32 v222, 0xbe750f2a, v119
	v_add_f32_e32 v112, v242, v112
	v_mul_f32_e32 v242, 0x3f29c268, v189
	v_add_f32_e32 v21, v37, v21
	v_add_f32_e32 v28, v222, v28
	v_fmac_f32_e32 v223, 0x3f6f5d39, v122
	v_mov_b32_e32 v243, v242
	v_add_f32_e32 v21, v39, v21
	v_add_f32_e32 v28, v223, v28
	v_fmac_f32_e32 v224, 0x3eedf032, v125
	v_fmac_f32_e32 v243, 0xbf3f9e67, v188
	v_add_f32_e32 v21, v33, v21
	v_add_f32_e32 v28, v224, v28
	v_fmac_f32_e32 v225, 0xbf52af12, v159
	v_add_f32_e32 v112, v243, v112
	v_mul_f32_e32 v243, 0x3f7e222b, v192
	v_add_f32_e32 v21, v35, v21
	v_add_f32_e32 v28, v225, v28
	v_fmac_f32_e32 v226, 0xbf29c268, v178
	v_mov_b32_e32 v244, v243
	v_add_f32_e32 v21, v29, v21
	v_add_f32_e32 v29, v226, v28
	v_fma_f32 v28, v179, s12, -v227
	v_fmac_f32_e32 v244, 0x3df6dbef, v191
	v_add_f32_e32 v20, v30, v20
	v_add_f32_e32 v28, v100, v28
	v_fma_f32 v30, v182, s15, -v228
	v_add_f32_e32 v112, v244, v112
	v_mul_f32_e32 v244, 0x3eedf032, v195
	v_add_f32_e32 v28, v30, v28
	v_fma_f32 v30, v185, s13, -v229
	v_mov_b32_e32 v245, v244
	v_add_f32_e32 v28, v30, v28
	v_fma_f32 v30, v188, s4, -v230
	v_fmac_f32_e32 v245, 0x3f62ad3f, v194
	v_add_f32_e32 v28, v30, v28
	v_fma_f32 v30, v191, s5, -v231
	v_add_f32_e32 v112, v245, v112
	v_mul_f32_e32 v245, 0x3f62ad3f, v114
	v_add_f32_e32 v28, v30, v28
	v_fma_f32 v30, v194, s14, -v232
	v_fmac_f32_e32 v233, 0xbf52af12, v117
	v_mov_b32_e32 v114, v245
	v_mul_f32_e32 v246, 0x3f116cb1, v115
	v_add_f32_e32 v28, v30, v28
	v_add_f32_e32 v30, v101, v233
	v_fmac_f32_e32 v234, 0xbf6f5d39, v119
	v_fmac_f32_e32 v114, 0x3eedf032, v117
	v_mov_b32_e32 v115, v246
	v_add_f32_e32 v30, v234, v30
	v_fmac_f32_e32 v235, 0xbe750f2a, v122
	v_add_f32_e32 v114, v101, v114
	v_fmac_f32_e32 v115, 0x3f52af12, v119
	v_mul_f32_e32 v120, 0x3df6dbef, v120
	v_add_f32_e32 v30, v235, v30
	v_fmac_f32_e32 v236, 0x3f29c268, v125
	v_add_f32_e32 v114, v115, v114
	v_mov_b32_e32 v115, v120
	v_add_f32_e32 v30, v236, v30
	v_fmac_f32_e32 v237, 0x3f7e222b, v159
	v_fmac_f32_e32 v115, 0x3f7e222b, v122
	v_mul_f32_e32 v123, 0xbeb58ec6, v123
	v_add_f32_e32 v30, v237, v30
	v_fmac_f32_e32 v238, 0x3eedf032, v178
	v_add_f32_e32 v114, v115, v114
	v_mov_b32_e32 v115, v123
	v_add_f32_e32 v21, v31, v21
	v_add_f32_e32 v31, v238, v30
	v_fma_f32 v30, v179, s5, -v239
	v_fmac_f32_e32 v115, 0x3f6f5d39, v125
	v_mul_f32_e32 v126, 0xbf3f9e67, v126
	v_add_f32_e32 v30, v100, v30
	v_fma_f32 v32, v182, s13, -v240
	v_add_f32_e32 v114, v115, v114
	v_mov_b32_e32 v115, v126
	v_add_f32_e32 v30, v32, v30
	v_fma_f32 v32, v185, s15, -v241
	v_fmac_f32_e32 v115, 0x3f29c268, v159
	v_mul_f32_e32 v160, 0xbf788fa5, v160
	v_add_f32_e32 v30, v32, v30
	v_fma_f32 v32, v188, s14, -v242
	v_add_f32_e32 v114, v115, v114
	v_mov_b32_e32 v115, v160
	v_add_f32_e32 v30, v32, v30
	v_fma_f32 v32, v191, s12, -v243
	v_fmac_f32_e32 v115, 0x3e750f2a, v178
	v_mul_f32_e32 v180, 0xbeedf032, v180
	v_add_f32_e32 v30, v32, v30
	v_fma_f32 v32, v194, s4, -v244
	v_fmac_f32_e32 v245, 0xbeedf032, v117
	v_add_f32_e32 v115, v115, v114
	v_mov_b32_e32 v114, v180
	v_mul_f32_e32 v183, 0xbf52af12, v183
	v_add_f32_e32 v30, v32, v30
	v_add_f32_e32 v32, v101, v245
	v_fmac_f32_e32 v246, 0xbf52af12, v119
	v_fmac_f32_e32 v114, 0x3f62ad3f, v179
	v_mov_b32_e32 v247, v183
	v_add_f32_e32 v32, v246, v32
	v_fmac_f32_e32 v120, 0xbf7e222b, v122
	v_add_f32_e32 v114, v100, v114
	v_fmac_f32_e32 v247, 0x3f116cb1, v182
	v_mul_f32_e32 v186, 0xbf7e222b, v186
	v_add_f32_e32 v32, v120, v32
	v_fmac_f32_e32 v123, 0xbf6f5d39, v125
	v_add_f32_e32 v114, v247, v114
	v_mov_b32_e32 v247, v186
	v_add_f32_e32 v32, v123, v32
	v_fmac_f32_e32 v126, 0xbf29c268, v159
	v_fmac_f32_e32 v247, 0x3df6dbef, v185
	v_mul_f32_e32 v189, 0xbf6f5d39, v189
	v_add_f32_e32 v32, v126, v32
	v_fmac_f32_e32 v160, 0xbe750f2a, v178
	v_add_f32_e32 v114, v247, v114
	v_mov_b32_e32 v247, v189
	v_add_f32_e32 v33, v160, v32
	v_fma_f32 v32, v179, s4, -v180
	v_fmac_f32_e32 v247, 0xbeb58ec6, v188
	v_mul_f32_e32 v192, 0xbf29c268, v192
	v_add_f32_e32 v32, v100, v32
	v_fma_f32 v34, v182, s5, -v183
	v_add_f32_e32 v114, v247, v114
	v_mov_b32_e32 v247, v192
	v_add_f32_e32 v32, v34, v32
	v_fma_f32 v34, v185, s12, -v186
	v_fmac_f32_e32 v247, 0xbf3f9e67, v191
	v_mul_f32_e32 v195, 0xbe750f2a, v195
	v_add_f32_e32 v32, v34, v32
	v_fma_f32 v34, v188, s13, -v189
	v_add_f32_e32 v114, v247, v114
	v_mov_b32_e32 v247, v195
	v_add_f32_e32 v32, v34, v32
	v_fma_f32 v34, v191, s14, -v192
	v_fmac_f32_e32 v247, 0xbf788fa5, v194
	v_add_f32_e32 v32, v34, v32
	v_fma_f32 v34, v194, s15, -v195
	v_add_f32_e32 v114, v247, v114
	v_add_f32_e32 v21, v158, v21
	;; [unrolled: 1-line block ×4, first 2 shown]
	v_lshlrev_b32_e32 v34, 3, v163
	ds_write2_b64 v34, v[20:21], v[114:115] offset1:1
	ds_write2_b64 v34, v[112:113], v[110:111] offset0:2 offset1:3
	ds_write2_b64 v34, v[108:109], v[106:107] offset0:4 offset1:5
	;; [unrolled: 1-line block ×5, first 2 shown]
	ds_write_b64 v34, v[32:33] offset:96
.LBB0_13:
	s_or_b64 exec, exec, s[2:3]
	v_add_u32_e32 v25, 0xc00, v161
	s_waitcnt lgkmcnt(0)
	s_barrier
	ds_read2_b64 v[32:35], v25 offset0:84 offset1:201
	v_add_u32_e32 v22, 0x2400, v161
	v_add_u32_e32 v24, 0x1400, v161
	ds_read2_b64 v[36:39], v22 offset0:18 offset1:135
	ds_read2_b64 v[100:103], v24 offset0:62 offset1:179
	v_add_u32_e32 v26, 0x2800, v161
	ds_read2_b64 v[108:111], v26 offset0:124 offset1:241
	v_add_u32_e32 v27, 0x400, v161
	v_add_u32_e32 v23, 0x1c00, v161
	s_waitcnt lgkmcnt(3)
	v_mul_f32_e32 v118, v5, v35
	v_mul_f32_e32 v5, v5, v34
	ds_read2_b64 v[28:31], v161 offset1:117
	ds_read2_b64 v[104:107], v27 offset0:106 offset1:223
	ds_read2_b64 v[112:115], v23 offset0:40 offset1:157
	ds_read_b64 v[116:117], v161 offset:13104
	v_fmac_f32_e32 v118, v4, v34
	v_fma_f32 v5, v4, v35, -v5
	s_waitcnt lgkmcnt(6)
	v_mul_f32_e32 v34, v7, v37
	v_mul_f32_e32 v4, v7, v36
	s_waitcnt lgkmcnt(5)
	v_mul_f32_e32 v35, v1, v101
	v_mul_f32_e32 v1, v1, v100
	v_fmac_f32_e32 v34, v6, v36
	v_fma_f32 v6, v6, v37, -v4
	v_fmac_f32_e32 v35, v0, v100
	v_fma_f32 v36, v0, v101, -v1
	v_mul_f32_e32 v37, v3, v39
	v_mul_f32_e32 v0, v3, v38
	v_fmac_f32_e32 v37, v2, v38
	v_fma_f32 v38, v2, v39, -v0
	v_mul_f32_e32 v0, v13, v102
	v_mul_f32_e32 v39, v13, v103
	v_fma_f32 v13, v12, v103, -v0
	s_waitcnt lgkmcnt(4)
	v_mul_f32_e32 v100, v15, v109
	v_mul_f32_e32 v0, v15, v108
	v_fmac_f32_e32 v39, v12, v102
	v_fmac_f32_e32 v100, v14, v108
	v_fma_f32 v15, v14, v109, -v0
	s_waitcnt lgkmcnt(1)
	v_mul_f32_e32 v0, v9, v112
	v_fma_f32 v102, v8, v113, -v0
	v_mul_f32_e32 v103, v11, v111
	v_mul_f32_e32 v0, v11, v110
	v_add_f32_e32 v11, v39, v100
	v_fma_f32 v12, -0.5, v11, v104
	v_sub_f32_e32 v11, v13, v15
	v_mov_b32_e32 v14, v12
	v_mul_f32_e32 v101, v9, v113
	v_fmac_f32_e32 v14, 0xbf5db3d7, v11
	v_fmac_f32_e32 v12, 0x3f5db3d7, v11
	v_add_f32_e32 v11, v105, v13
	v_add_f32_e32 v13, v13, v15
	v_fmac_f32_e32 v101, v8, v112
	v_fmac_f32_e32 v103, v10, v110
	v_fma_f32 v108, v10, v111, -v0
	v_mul_f32_e32 v109, v17, v115
	v_mul_f32_e32 v0, v17, v114
	v_add_f32_e32 v1, v118, v34
	v_fma_f32 v13, -0.5, v13, v105
	v_fmac_f32_e32 v109, v16, v114
	v_fma_f32 v110, v16, v115, -v0
	v_fma_f32 v2, -0.5, v1, v28
	v_add_f32_e32 v11, v11, v15
	v_sub_f32_e32 v16, v39, v100
	v_mov_b32_e32 v15, v13
	v_add_f32_e32 v17, v101, v103
	s_waitcnt lgkmcnt(0)
	v_mul_f32_e32 v111, v19, v117
	v_mul_f32_e32 v0, v19, v116
	v_sub_f32_e32 v1, v5, v6
	v_mov_b32_e32 v4, v2
	v_add_f32_e32 v3, v5, v6
	v_fmac_f32_e32 v15, 0x3f5db3d7, v16
	v_fmac_f32_e32 v13, 0xbf5db3d7, v16
	v_add_f32_e32 v16, v106, v101
	v_fma_f32 v106, -0.5, v17, v106
	v_fmac_f32_e32 v111, v18, v116
	v_fma_f32 v112, v18, v117, -v0
	v_fmac_f32_e32 v4, 0xbf5db3d7, v1
	v_fmac_f32_e32 v2, 0x3f5db3d7, v1
	v_add_f32_e32 v1, v29, v5
	v_fma_f32 v3, -0.5, v3, v29
	v_sub_f32_e32 v17, v102, v108
	v_mov_b32_e32 v18, v106
	v_add_f32_e32 v19, v102, v108
	v_add_f32_e32 v1, v1, v6
	v_sub_f32_e32 v6, v118, v34
	v_mov_b32_e32 v5, v3
	v_add_f32_e32 v7, v35, v37
	v_fmac_f32_e32 v18, 0xbf5db3d7, v17
	v_fmac_f32_e32 v106, 0x3f5db3d7, v17
	v_add_f32_e32 v17, v107, v102
	v_fmac_f32_e32 v107, -0.5, v19
	v_add_f32_e32 v0, v28, v118
	v_fmac_f32_e32 v5, 0x3f5db3d7, v6
	v_fmac_f32_e32 v3, 0xbf5db3d7, v6
	v_add_f32_e32 v6, v30, v35
	v_fma_f32 v30, -0.5, v7, v30
	v_sub_f32_e32 v28, v101, v103
	v_mov_b32_e32 v19, v107
	v_add_f32_e32 v29, v109, v111
	v_sub_f32_e32 v7, v36, v38
	v_mov_b32_e32 v8, v30
	v_add_f32_e32 v9, v36, v38
	v_fmac_f32_e32 v19, 0x3f5db3d7, v28
	v_fmac_f32_e32 v107, 0xbf5db3d7, v28
	v_add_f32_e32 v28, v32, v109
	v_fma_f32 v32, -0.5, v29, v32
	v_add_f32_e32 v0, v0, v34
	v_fmac_f32_e32 v8, 0xbf5db3d7, v7
	v_fmac_f32_e32 v30, 0x3f5db3d7, v7
	v_add_f32_e32 v7, v31, v36
	v_fmac_f32_e32 v31, -0.5, v9
	v_sub_f32_e32 v10, v35, v37
	v_sub_f32_e32 v29, v110, v112
	v_mov_b32_e32 v34, v32
	v_add_f32_e32 v35, v110, v112
	v_mov_b32_e32 v9, v31
	v_fmac_f32_e32 v34, 0xbf5db3d7, v29
	v_fmac_f32_e32 v32, 0x3f5db3d7, v29
	v_add_f32_e32 v29, v33, v110
	v_fmac_f32_e32 v33, -0.5, v35
	v_fmac_f32_e32 v9, 0x3f5db3d7, v10
	v_fmac_f32_e32 v31, 0xbf5db3d7, v10
	v_add_f32_e32 v10, v104, v39
	v_sub_f32_e32 v36, v109, v111
	v_mov_b32_e32 v35, v33
	v_add_f32_e32 v6, v6, v37
	v_add_f32_e32 v7, v7, v38
	;; [unrolled: 1-line block ×7, first 2 shown]
	v_fmac_f32_e32 v35, 0x3f5db3d7, v36
	v_fmac_f32_e32 v33, 0xbf5db3d7, v36
	s_barrier
	ds_write2_b64 v164, v[0:1], v[4:5] offset1:13
	ds_write_b64 v164, v[2:3] offset:208
	ds_write2_b64 v165, v[6:7], v[8:9] offset1:13
	ds_write_b64 v165, v[30:31] offset:208
	;; [unrolled: 2-line block ×5, first 2 shown]
	s_waitcnt lgkmcnt(0)
	s_barrier
	ds_read2_b64 v[0:3], v161 offset1:117
	ds_read2_b64 v[4:7], v25 offset0:84 offset1:201
	ds_read2_b64 v[8:11], v22 offset0:18 offset1:135
	;; [unrolled: 1-line block ×6, first 2 shown]
	ds_read_b64 v[36:37], v161 offset:13104
	s_waitcnt lgkmcnt(6)
	v_mul_f32_e32 v38, v45, v7
	v_fmac_f32_e32 v38, v44, v6
	v_mul_f32_e32 v6, v45, v6
	v_fma_f32 v39, v44, v7, -v6
	s_waitcnt lgkmcnt(5)
	v_mul_f32_e32 v6, v47, v8
	v_mul_f32_e32 v44, v47, v9
	v_fma_f32 v9, v46, v9, -v6
	s_waitcnt lgkmcnt(4)
	v_mul_f32_e32 v6, v41, v12
	v_mul_f32_e32 v45, v41, v13
	v_fma_f32 v13, v40, v13, -v6
	v_mul_f32_e32 v6, v43, v10
	v_fma_f32 v41, v42, v11, -v6
	v_mul_f32_e32 v6, v49, v14
	v_fmac_f32_e32 v45, v40, v12
	v_mul_f32_e32 v40, v43, v11
	v_fma_f32 v43, v48, v15, -v6
	s_waitcnt lgkmcnt(2)
	v_mul_f32_e32 v6, v51, v28
	v_fmac_f32_e32 v44, v46, v8
	v_mul_f32_e32 v46, v51, v29
	v_fma_f32 v29, v50, v29, -v6
	s_waitcnt lgkmcnt(1)
	v_mul_f32_e32 v6, v53, v32
	v_mul_f32_e32 v47, v53, v33
	v_fma_f32 v33, v52, v33, -v6
	v_mul_f32_e32 v6, v55, v30
	v_fmac_f32_e32 v40, v42, v10
	v_mul_f32_e32 v42, v49, v15
	v_fma_f32 v49, v54, v31, -v6
	v_mul_f32_e32 v6, v57, v34
	v_fma_f32 v51, v56, v35, -v6
	s_waitcnt lgkmcnt(0)
	v_mul_f32_e32 v6, v59, v36
	v_add_f32_e32 v7, v38, v44
	v_fmac_f32_e32 v47, v52, v32
	v_mul_f32_e32 v52, v59, v37
	v_fma_f32 v37, v58, v37, -v6
	v_add_f32_e32 v6, v0, v38
	v_fma_f32 v0, -0.5, v7, v0
	v_sub_f32_e32 v7, v39, v9
	v_mov_b32_e32 v8, v0
	v_fmac_f32_e32 v8, 0xbf5db3d7, v7
	v_fmac_f32_e32 v0, 0x3f5db3d7, v7
	v_add_f32_e32 v7, v1, v39
	v_add_f32_e32 v7, v7, v9
	;; [unrolled: 1-line block ×3, first 2 shown]
	v_fma_f32 v1, -0.5, v9, v1
	v_sub_f32_e32 v10, v38, v44
	v_mov_b32_e32 v9, v1
	v_add_f32_e32 v11, v45, v40
	v_fmac_f32_e32 v9, 0x3f5db3d7, v10
	v_fmac_f32_e32 v1, 0xbf5db3d7, v10
	v_add_f32_e32 v10, v2, v45
	v_fma_f32 v2, -0.5, v11, v2
	v_sub_f32_e32 v11, v13, v41
	v_mov_b32_e32 v12, v2
	v_fmac_f32_e32 v12, 0xbf5db3d7, v11
	v_fmac_f32_e32 v2, 0x3f5db3d7, v11
	v_add_f32_e32 v11, v3, v13
	v_add_f32_e32 v13, v13, v41
	v_fmac_f32_e32 v42, v48, v14
	v_fmac_f32_e32 v46, v50, v28
	v_fmac_f32_e32 v3, -0.5, v13
	v_sub_f32_e32 v14, v45, v40
	v_mov_b32_e32 v13, v3
	v_add_f32_e32 v15, v42, v46
	v_fmac_f32_e32 v13, 0x3f5db3d7, v14
	v_fmac_f32_e32 v3, 0xbf5db3d7, v14
	v_add_f32_e32 v14, v16, v42
	v_fma_f32 v16, -0.5, v15, v16
	v_sub_f32_e32 v15, v43, v29
	v_mov_b32_e32 v28, v16
	v_fmac_f32_e32 v28, 0xbf5db3d7, v15
	v_fmac_f32_e32 v16, 0x3f5db3d7, v15
	v_add_f32_e32 v15, v17, v43
	v_mul_f32_e32 v48, v55, v31
	v_add_f32_e32 v15, v15, v29
	v_add_f32_e32 v29, v43, v29
	v_fmac_f32_e32 v48, v54, v30
	v_fma_f32 v17, -0.5, v29, v17
	v_sub_f32_e32 v30, v42, v46
	v_mov_b32_e32 v29, v17
	v_add_f32_e32 v31, v47, v48
	v_fmac_f32_e32 v29, 0x3f5db3d7, v30
	v_fmac_f32_e32 v17, 0xbf5db3d7, v30
	v_add_f32_e32 v30, v18, v47
	v_fma_f32 v18, -0.5, v31, v18
	v_sub_f32_e32 v31, v33, v49
	v_mov_b32_e32 v32, v18
	v_mul_f32_e32 v50, v57, v35
	v_fmac_f32_e32 v32, 0xbf5db3d7, v31
	v_fmac_f32_e32 v18, 0x3f5db3d7, v31
	v_add_f32_e32 v31, v19, v33
	v_add_f32_e32 v33, v33, v49
	v_fmac_f32_e32 v50, v56, v34
	v_fmac_f32_e32 v52, v58, v36
	v_fmac_f32_e32 v19, -0.5, v33
	v_sub_f32_e32 v34, v47, v48
	v_mov_b32_e32 v33, v19
	v_add_f32_e32 v35, v50, v52
	v_fmac_f32_e32 v33, 0x3f5db3d7, v34
	v_fmac_f32_e32 v19, 0xbf5db3d7, v34
	v_add_f32_e32 v34, v4, v50
	v_fma_f32 v4, -0.5, v35, v4
	v_sub_f32_e32 v35, v51, v37
	v_mov_b32_e32 v36, v4
	v_fmac_f32_e32 v36, 0xbf5db3d7, v35
	v_fmac_f32_e32 v4, 0x3f5db3d7, v35
	v_add_f32_e32 v35, v5, v51
	v_add_f32_e32 v35, v35, v37
	;; [unrolled: 1-line block ×3, first 2 shown]
	v_fmac_f32_e32 v5, -0.5, v37
	v_sub_f32_e32 v38, v50, v52
	v_mov_b32_e32 v37, v5
	v_add_f32_e32 v6, v6, v44
	v_add_f32_e32 v10, v10, v40
	;; [unrolled: 1-line block ×7, first 2 shown]
	v_fmac_f32_e32 v37, 0x3f5db3d7, v38
	v_fmac_f32_e32 v5, 0xbf5db3d7, v38
	s_barrier
	ds_write2_b64 v169, v[6:7], v[8:9] offset1:39
	ds_write_b64 v169, v[0:1] offset:624
	ds_write2_b64 v170, v[10:11], v[12:13] offset1:39
	ds_write_b64 v170, v[2:3] offset:624
	;; [unrolled: 2-line block ×5, first 2 shown]
	s_waitcnt lgkmcnt(0)
	s_barrier
	ds_read2_b64 v[0:3], v161 offset1:117
	ds_read2_b64 v[4:7], v25 offset0:84 offset1:201
	ds_read2_b64 v[8:11], v22 offset0:18 offset1:135
	;; [unrolled: 1-line block ×6, first 2 shown]
	ds_read_b64 v[36:37], v161 offset:13104
	s_waitcnt lgkmcnt(6)
	v_mul_f32_e32 v38, v61, v7
	v_fmac_f32_e32 v38, v60, v6
	v_mul_f32_e32 v6, v61, v6
	v_fma_f32 v39, v60, v7, -v6
	s_waitcnt lgkmcnt(5)
	v_mul_f32_e32 v6, v63, v8
	v_mul_f32_e32 v40, v63, v9
	v_fma_f32 v9, v62, v9, -v6
	s_waitcnt lgkmcnt(4)
	v_mul_f32_e32 v6, v61, v12
	v_mul_f32_e32 v41, v61, v13
	v_fma_f32 v13, v60, v13, -v6
	v_mul_f32_e32 v6, v63, v10
	v_fma_f32 v43, v62, v11, -v6
	;; [unrolled: 2-line block ×3, first 2 shown]
	s_waitcnt lgkmcnt(2)
	v_mul_f32_e32 v6, v67, v28
	v_mul_f32_e32 v46, v67, v29
	v_fma_f32 v29, v66, v29, -v6
	s_waitcnt lgkmcnt(1)
	v_mul_f32_e32 v6, v69, v32
	v_mul_f32_e32 v47, v69, v33
	v_fma_f32 v33, v68, v33, -v6
	v_mul_f32_e32 v6, v71, v30
	v_fmac_f32_e32 v40, v62, v8
	v_fma_f32 v49, v70, v31, -v6
	v_mul_f32_e32 v6, v73, v34
	v_fma_f32 v51, v72, v35, -v6
	s_waitcnt lgkmcnt(0)
	v_mul_f32_e32 v6, v75, v36
	v_add_f32_e32 v7, v38, v40
	v_mul_f32_e32 v52, v75, v37
	v_fma_f32 v37, v74, v37, -v6
	v_add_f32_e32 v6, v0, v38
	v_fma_f32 v0, -0.5, v7, v0
	v_sub_f32_e32 v7, v39, v9
	v_mov_b32_e32 v8, v0
	v_fmac_f32_e32 v8, 0xbf5db3d7, v7
	v_fmac_f32_e32 v0, 0x3f5db3d7, v7
	v_add_f32_e32 v7, v1, v39
	v_mul_f32_e32 v42, v63, v11
	v_add_f32_e32 v7, v7, v9
	v_add_f32_e32 v9, v39, v9
	v_fmac_f32_e32 v41, v60, v12
	v_fmac_f32_e32 v42, v62, v10
	v_fma_f32 v1, -0.5, v9, v1
	v_sub_f32_e32 v10, v38, v40
	v_mov_b32_e32 v9, v1
	v_add_f32_e32 v11, v41, v42
	v_fmac_f32_e32 v9, 0x3f5db3d7, v10
	v_fmac_f32_e32 v1, 0xbf5db3d7, v10
	v_add_f32_e32 v10, v2, v41
	v_fma_f32 v2, -0.5, v11, v2
	v_sub_f32_e32 v11, v13, v43
	v_mov_b32_e32 v12, v2
	v_mul_f32_e32 v44, v65, v15
	v_fmac_f32_e32 v12, 0xbf5db3d7, v11
	v_fmac_f32_e32 v2, 0x3f5db3d7, v11
	v_add_f32_e32 v11, v3, v13
	v_add_f32_e32 v13, v13, v43
	v_fmac_f32_e32 v44, v64, v14
	v_fmac_f32_e32 v46, v66, v28
	v_fmac_f32_e32 v3, -0.5, v13
	v_sub_f32_e32 v14, v41, v42
	v_mov_b32_e32 v13, v3
	v_add_f32_e32 v15, v44, v46
	v_fmac_f32_e32 v13, 0x3f5db3d7, v14
	v_fmac_f32_e32 v3, 0xbf5db3d7, v14
	v_add_f32_e32 v14, v16, v44
	v_fma_f32 v16, -0.5, v15, v16
	v_sub_f32_e32 v15, v45, v29
	v_mov_b32_e32 v28, v16
	v_fmac_f32_e32 v28, 0xbf5db3d7, v15
	v_fmac_f32_e32 v16, 0x3f5db3d7, v15
	v_add_f32_e32 v15, v17, v45
	v_mul_f32_e32 v48, v71, v31
	v_add_f32_e32 v15, v15, v29
	v_add_f32_e32 v29, v45, v29
	v_fmac_f32_e32 v47, v68, v32
	v_fmac_f32_e32 v48, v70, v30
	v_fma_f32 v17, -0.5, v29, v17
	v_sub_f32_e32 v30, v44, v46
	v_mov_b32_e32 v29, v17
	v_add_f32_e32 v31, v47, v48
	v_fmac_f32_e32 v29, 0x3f5db3d7, v30
	v_fmac_f32_e32 v17, 0xbf5db3d7, v30
	v_add_f32_e32 v30, v18, v47
	v_fma_f32 v18, -0.5, v31, v18
	v_sub_f32_e32 v31, v33, v49
	v_mov_b32_e32 v32, v18
	v_mul_f32_e32 v50, v73, v35
	v_fmac_f32_e32 v32, 0xbf5db3d7, v31
	v_fmac_f32_e32 v18, 0x3f5db3d7, v31
	v_add_f32_e32 v31, v19, v33
	v_add_f32_e32 v33, v33, v49
	v_fmac_f32_e32 v50, v72, v34
	v_fmac_f32_e32 v52, v74, v36
	v_fmac_f32_e32 v19, -0.5, v33
	v_sub_f32_e32 v34, v47, v48
	v_mov_b32_e32 v33, v19
	v_add_f32_e32 v35, v50, v52
	v_fmac_f32_e32 v33, 0x3f5db3d7, v34
	v_fmac_f32_e32 v19, 0xbf5db3d7, v34
	v_add_f32_e32 v34, v4, v50
	v_fma_f32 v4, -0.5, v35, v4
	v_sub_f32_e32 v35, v51, v37
	v_mov_b32_e32 v36, v4
	v_fmac_f32_e32 v36, 0xbf5db3d7, v35
	v_fmac_f32_e32 v4, 0x3f5db3d7, v35
	v_add_f32_e32 v35, v5, v51
	v_add_f32_e32 v6, v6, v40
	;; [unrolled: 1-line block ×7, first 2 shown]
	v_fmac_f32_e32 v5, -0.5, v37
	s_barrier
	ds_write2_b64 v161, v[6:7], v[8:9] offset1:117
	ds_write2_b64 v27, v[0:1], v[10:11] offset0:106 offset1:223
	ds_write2_b64 v25, v[12:13], v[2:3] offset0:84 offset1:201
	v_add_u32_e32 v0, 0x1400, v174
	v_add_f32_e32 v30, v30, v48
	v_add_f32_e32 v31, v31, v49
	v_sub_f32_e32 v38, v50, v52
	v_mov_b32_e32 v37, v5
	ds_write2_b64 v0, v[14:15], v[28:29] offset0:62 offset1:179
	ds_write_b64 v174, v[16:17] offset:7488
	v_add_u32_e32 v0, 0x2000, v175
	v_add_f32_e32 v34, v34, v52
	v_fmac_f32_e32 v37, 0x3f5db3d7, v38
	v_fmac_f32_e32 v5, 0xbf5db3d7, v38
	ds_write2_b64 v0, v[30:31], v[32:33] offset0:29 offset1:146
	ds_write_b64 v175, v[18:19] offset:10296
	v_add_u32_e32 v0, 0x2800, v176
	ds_write2_b64 v0, v[34:35], v[36:37] offset0:124 offset1:241
	ds_write_b64 v176, v[4:5] offset:13104
	s_waitcnt lgkmcnt(0)
	s_barrier
	ds_read2_b64 v[0:3], v161 offset1:117
	ds_read2_b64 v[4:7], v27 offset0:106 offset1:223
	ds_read2_b64 v[8:11], v24 offset0:62 offset1:179
	ds_read2_b64 v[12:15], v23 offset0:40 offset1:157
	ds_read2_b64 v[16:19], v26 offset0:124 offset1:241
	ds_read2_b64 v[28:31], v25 offset0:84 offset1:201
	ds_read2_b64 v[32:35], v22 offset0:18 offset1:135
	ds_read_b64 v[36:37], v161 offset:13104
	s_waitcnt lgkmcnt(6)
	v_mul_f32_e32 v38, v89, v7
	v_fmac_f32_e32 v38, v88, v6
	v_mul_f32_e32 v6, v89, v6
	v_fma_f32 v39, v88, v7, -v6
	s_waitcnt lgkmcnt(5)
	v_mul_f32_e32 v6, v91, v8
	v_fma_f32 v41, v90, v9, -v6
	s_waitcnt lgkmcnt(4)
	v_mul_f32_e32 v42, v77, v15
	v_mul_f32_e32 v6, v77, v14
	v_fmac_f32_e32 v42, v76, v14
	v_fma_f32 v14, v76, v15, -v6
	s_waitcnt lgkmcnt(3)
	v_mul_f32_e32 v15, v79, v17
	v_mul_f32_e32 v6, v79, v16
	;; [unrolled: 1-line block ×3, first 2 shown]
	v_fmac_f32_e32 v15, v78, v16
	v_fma_f32 v16, v78, v17, -v6
	s_waitcnt lgkmcnt(2)
	v_mul_f32_e32 v6, v93, v28
	v_fmac_f32_e32 v40, v90, v8
	v_fma_f32 v44, v92, v29, -v6
	v_mul_f32_e32 v6, v95, v10
	v_fma_f32 v45, v94, v11, -v6
	s_waitcnt lgkmcnt(1)
	v_mul_f32_e32 v46, v81, v33
	v_mul_f32_e32 v6, v81, v32
	v_add_f32_e32 v7, v40, v42
	v_mul_f32_e32 v43, v93, v29
	v_mul_f32_e32 v29, v95, v11
	v_fmac_f32_e32 v46, v80, v32
	v_fma_f32 v32, v80, v33, -v6
	v_mul_f32_e32 v6, v83, v18
	v_fma_f32 v8, -0.5, v7, v0
	v_fmac_f32_e32 v29, v94, v10
	v_fma_f32 v47, v82, v19, -v6
	v_mul_f32_e32 v6, v97, v30
	v_mul_f32_e32 v50, v99, v13
	v_sub_f32_e32 v7, v39, v16
	v_mov_b32_e32 v10, v8
	v_fma_f32 v49, v96, v31, -v6
	v_fmac_f32_e32 v50, v98, v12
	v_mul_f32_e32 v6, v99, v12
	v_fmac_f32_e32 v10, 0xbf737871, v7
	v_sub_f32_e32 v9, v41, v14
	v_sub_f32_e32 v11, v38, v40
	;; [unrolled: 1-line block ×3, first 2 shown]
	v_fmac_f32_e32 v8, 0x3f737871, v7
	v_fma_f32 v51, v98, v13, -v6
	v_mul_f32_e32 v6, v85, v34
	v_fmac_f32_e32 v10, 0xbf167918, v9
	v_add_f32_e32 v11, v11, v12
	v_fmac_f32_e32 v8, 0x3f167918, v9
	v_fma_f32 v53, v84, v35, -v6
	s_waitcnt lgkmcnt(0)
	v_mul_f32_e32 v6, v87, v36
	v_fmac_f32_e32 v10, 0x3e9e377a, v11
	v_fmac_f32_e32 v8, 0x3e9e377a, v11
	v_add_f32_e32 v11, v38, v15
	v_fma_f32 v54, v86, v37, -v6
	v_add_f32_e32 v6, v0, v38
	v_fma_f32 v0, -0.5, v11, v0
	v_mov_b32_e32 v12, v0
	v_add_f32_e32 v6, v6, v40
	v_fmac_f32_e32 v12, 0x3f737871, v9
	v_sub_f32_e32 v11, v40, v38
	v_sub_f32_e32 v13, v42, v15
	v_fmac_f32_e32 v0, 0xbf737871, v9
	v_add_f32_e32 v9, v41, v14
	v_add_f32_e32 v6, v6, v42
	v_fmac_f32_e32 v12, 0xbf167918, v7
	v_add_f32_e32 v11, v11, v13
	v_fmac_f32_e32 v0, 0x3f167918, v7
	v_fma_f32 v9, -0.5, v9, v1
	v_mul_f32_e32 v33, v83, v19
	v_add_f32_e32 v6, v6, v15
	v_fmac_f32_e32 v12, 0x3e9e377a, v11
	v_fmac_f32_e32 v0, 0x3e9e377a, v11
	v_sub_f32_e32 v15, v38, v15
	v_mov_b32_e32 v11, v9
	v_fmac_f32_e32 v33, v82, v18
	v_fmac_f32_e32 v11, 0x3f737871, v15
	v_sub_f32_e32 v17, v40, v42
	v_sub_f32_e32 v13, v39, v41
	;; [unrolled: 1-line block ×3, first 2 shown]
	v_fmac_f32_e32 v9, 0xbf737871, v15
	v_fmac_f32_e32 v11, 0x3f167918, v17
	v_add_f32_e32 v13, v13, v18
	v_fmac_f32_e32 v9, 0xbf167918, v17
	v_fmac_f32_e32 v11, 0x3e9e377a, v13
	;; [unrolled: 1-line block ×3, first 2 shown]
	v_add_f32_e32 v13, v39, v16
	v_add_f32_e32 v7, v1, v39
	v_fma_f32 v1, -0.5, v13, v1
	v_mov_b32_e32 v13, v1
	v_add_f32_e32 v7, v7, v41
	v_fmac_f32_e32 v13, 0xbf737871, v17
	v_fmac_f32_e32 v1, 0x3f737871, v17
	v_add_f32_e32 v7, v7, v14
	v_fmac_f32_e32 v13, 0x3f167918, v15
	v_fmac_f32_e32 v1, 0xbf167918, v15
	v_add_f32_e32 v15, v29, v46
	v_add_f32_e32 v7, v7, v16
	v_sub_f32_e32 v18, v41, v39
	v_sub_f32_e32 v14, v14, v16
	v_fma_f32 v16, -0.5, v15, v2
	v_fmac_f32_e32 v43, v92, v28
	v_add_f32_e32 v14, v18, v14
	v_sub_f32_e32 v15, v44, v47
	v_mov_b32_e32 v18, v16
	v_fmac_f32_e32 v18, 0xbf737871, v15
	v_sub_f32_e32 v17, v45, v32
	v_sub_f32_e32 v19, v43, v29
	;; [unrolled: 1-line block ×3, first 2 shown]
	v_fmac_f32_e32 v16, 0x3f737871, v15
	v_fmac_f32_e32 v18, 0xbf167918, v17
	v_add_f32_e32 v19, v19, v28
	v_fmac_f32_e32 v16, 0x3f167918, v17
	v_fmac_f32_e32 v18, 0x3e9e377a, v19
	;; [unrolled: 1-line block ×3, first 2 shown]
	v_add_f32_e32 v19, v43, v33
	v_fmac_f32_e32 v13, 0x3e9e377a, v14
	v_fmac_f32_e32 v1, 0x3e9e377a, v14
	v_add_f32_e32 v14, v2, v43
	v_fma_f32 v2, -0.5, v19, v2
	v_mul_f32_e32 v48, v97, v31
	v_mov_b32_e32 v28, v2
	v_fmac_f32_e32 v48, v96, v30
	v_fmac_f32_e32 v28, 0x3f737871, v17
	v_sub_f32_e32 v19, v29, v43
	v_sub_f32_e32 v30, v46, v33
	v_fmac_f32_e32 v2, 0xbf737871, v17
	v_add_f32_e32 v17, v45, v32
	v_add_f32_e32 v14, v14, v29
	v_fmac_f32_e32 v28, 0xbf167918, v15
	v_add_f32_e32 v19, v19, v30
	v_fmac_f32_e32 v2, 0x3f167918, v15
	v_fma_f32 v17, -0.5, v17, v3
	v_add_f32_e32 v14, v14, v46
	v_fmac_f32_e32 v28, 0x3e9e377a, v19
	v_fmac_f32_e32 v2, 0x3e9e377a, v19
	v_sub_f32_e32 v30, v43, v33
	v_mov_b32_e32 v19, v17
	v_add_f32_e32 v14, v14, v33
	v_fmac_f32_e32 v19, 0x3f737871, v30
	v_sub_f32_e32 v31, v29, v46
	v_sub_f32_e32 v29, v44, v45
	;; [unrolled: 1-line block ×3, first 2 shown]
	v_fmac_f32_e32 v17, 0xbf737871, v30
	v_fmac_f32_e32 v19, 0x3f167918, v31
	v_add_f32_e32 v29, v29, v33
	v_fmac_f32_e32 v17, 0xbf167918, v31
	v_fmac_f32_e32 v19, 0x3e9e377a, v29
	;; [unrolled: 1-line block ×3, first 2 shown]
	v_add_f32_e32 v29, v44, v47
	v_add_f32_e32 v15, v3, v44
	v_fmac_f32_e32 v3, -0.5, v29
	v_mul_f32_e32 v52, v85, v35
	v_add_f32_e32 v15, v15, v45
	v_mov_b32_e32 v29, v3
	v_fmac_f32_e32 v52, v84, v34
	v_add_f32_e32 v15, v15, v32
	v_fmac_f32_e32 v29, 0xbf737871, v31
	v_sub_f32_e32 v33, v45, v44
	v_sub_f32_e32 v32, v32, v47
	v_fmac_f32_e32 v3, 0x3f737871, v31
	v_fmac_f32_e32 v29, 0x3f167918, v30
	v_add_f32_e32 v32, v33, v32
	v_fmac_f32_e32 v3, 0xbf167918, v30
	v_add_f32_e32 v31, v50, v52
	v_mul_f32_e32 v35, v87, v37
	v_fmac_f32_e32 v29, 0x3e9e377a, v32
	v_fmac_f32_e32 v3, 0x3e9e377a, v32
	v_fma_f32 v32, -0.5, v31, v4
	v_fmac_f32_e32 v35, v86, v36
	v_sub_f32_e32 v31, v49, v54
	v_mov_b32_e32 v34, v32
	v_fmac_f32_e32 v34, 0xbf737871, v31
	v_sub_f32_e32 v33, v51, v53
	v_sub_f32_e32 v36, v48, v50
	;; [unrolled: 1-line block ×3, first 2 shown]
	v_fmac_f32_e32 v32, 0x3f737871, v31
	v_fmac_f32_e32 v34, 0xbf167918, v33
	v_add_f32_e32 v36, v36, v37
	v_fmac_f32_e32 v32, 0x3f167918, v33
	v_fmac_f32_e32 v34, 0x3e9e377a, v36
	;; [unrolled: 1-line block ×3, first 2 shown]
	v_add_f32_e32 v36, v48, v35
	v_add_f32_e32 v30, v4, v48
	v_fma_f32 v4, -0.5, v36, v4
	v_mov_b32_e32 v36, v4
	v_add_f32_e32 v30, v30, v50
	v_fmac_f32_e32 v36, 0x3f737871, v33
	v_fmac_f32_e32 v4, 0xbf737871, v33
	v_add_f32_e32 v33, v51, v53
	v_add_f32_e32 v30, v30, v52
	v_sub_f32_e32 v37, v50, v48
	v_sub_f32_e32 v38, v52, v35
	v_fma_f32 v33, -0.5, v33, v5
	v_add_f32_e32 v30, v30, v35
	v_fmac_f32_e32 v36, 0xbf167918, v31
	v_add_f32_e32 v37, v37, v38
	v_fmac_f32_e32 v4, 0x3f167918, v31
	v_sub_f32_e32 v38, v48, v35
	v_mov_b32_e32 v35, v33
	v_fmac_f32_e32 v36, 0x3e9e377a, v37
	v_fmac_f32_e32 v4, 0x3e9e377a, v37
	;; [unrolled: 1-line block ×3, first 2 shown]
	v_sub_f32_e32 v39, v50, v52
	v_sub_f32_e32 v37, v49, v51
	v_sub_f32_e32 v40, v54, v53
	v_fmac_f32_e32 v33, 0xbf737871, v38
	v_fmac_f32_e32 v35, 0x3f167918, v39
	v_add_f32_e32 v37, v37, v40
	v_fmac_f32_e32 v33, 0xbf167918, v39
	v_fmac_f32_e32 v35, 0x3e9e377a, v37
	;; [unrolled: 1-line block ×3, first 2 shown]
	v_add_f32_e32 v37, v49, v54
	v_add_f32_e32 v31, v5, v49
	v_fmac_f32_e32 v5, -0.5, v37
	v_mov_b32_e32 v37, v5
	v_add_f32_e32 v31, v31, v51
	v_fmac_f32_e32 v37, 0xbf737871, v39
	v_sub_f32_e32 v40, v51, v49
	v_sub_f32_e32 v41, v53, v54
	v_fmac_f32_e32 v5, 0x3f737871, v39
	v_mad_u64_u32 v[20:21], s[2:3], s10, v146, 0
	v_add_f32_e32 v15, v15, v47
	v_add_f32_e32 v31, v31, v53
	v_fmac_f32_e32 v37, 0x3f167918, v38
	v_add_f32_e32 v40, v40, v41
	v_fmac_f32_e32 v5, 0xbf167918, v38
	;; [unrolled: 2-line block ×3, first 2 shown]
	v_fmac_f32_e32 v5, 0x3e9e377a, v40
	ds_write2_b64 v161, v[6:7], v[14:15] offset1:117
	ds_write2_b64 v24, v[12:13], v[28:29] offset0:62 offset1:179
	ds_write2_b64 v26, v[8:9], v[16:17] offset0:124 offset1:241
	;; [unrolled: 1-line block ×6, first 2 shown]
	ds_write_b64 v161, v[32:33] offset:13104
	s_waitcnt lgkmcnt(0)
	s_barrier
	ds_read2_b64 v[0:3], v161 offset1:135
	v_mov_b32_e32 v4, v21
	v_mad_u64_u32 v[4:5], s[2:3], s11, v146, v[4:5]
	s_mov_b32 s2, 0x68012abd
	s_waitcnt lgkmcnt(0)
	v_mul_f32_e32 v5, v156, v1
	v_fmac_f32_e32 v5, v155, v0
	v_cvt_f64_f32_e32 v[5:6], v5
	v_mul_f32_e32 v0, v156, v0
	s_mov_b32 s3, 0x3f42abd5
	v_fma_f32 v0, v155, v1, -v0
	v_cvt_f64_f32_e32 v[0:1], v0
	v_mul_f64 v[5:6], v[5:6], s[2:3]
	v_mad_u64_u32 v[7:8], s[4:5], s8, v162, 0
	v_mul_f64 v[0:1], v[0:1], s[2:3]
	v_mov_b32_e32 v21, v4
	v_mov_b32_e32 v4, v8
	s_movk_i32 s10, 0x2000
	v_mad_u64_u32 v[8:9], s[4:5], s9, v162, v[4:5]
	v_mul_f32_e32 v9, v154, v3
	v_fmac_f32_e32 v9, v153, v2
	v_cvt_f64_f32_e32 v[9:10], v9
	v_cvt_f32_f64_e32 v4, v[5:6]
	v_cvt_f32_f64_e32 v5, v[0:1]
	v_lshlrev_b64 v[0:1], 3, v[20:21]
	v_mov_b32_e32 v6, s7
	v_add_co_u32_e32 v11, vcc, s6, v0
	v_mul_f32_e32 v2, v154, v2
	v_addc_co_u32_e32 v12, vcc, v6, v1, vcc
	v_mul_f64 v[0:1], v[9:10], s[2:3]
	v_fma_f32 v2, v153, v3, -v2
	v_cvt_f64_f32_e32 v[2:3], v2
	v_lshlrev_b64 v[6:7], 3, v[7:8]
	s_mul_i32 s4, s9, 0x87
	v_add_co_u32_e32 v6, vcc, v11, v6
	v_mul_f64 v[8:9], v[2:3], s[2:3]
	v_addc_co_u32_e32 v7, vcc, v12, v7, vcc
	global_store_dwordx2 v[6:7], v[4:5], off
	v_cvt_f32_f64_e32 v4, v[0:1]
	v_add_u32_e32 v0, 0x800, v161
	ds_read2_b64 v[0:3], v0 offset0:14 offset1:149
	s_mul_hi_u32 s5, s8, 0x87
	v_cvt_f32_f64_e32 v5, v[8:9]
	s_add_i32 s5, s5, s4
	s_mul_i32 s4, s8, 0x87
	s_waitcnt lgkmcnt(0)
	v_mul_f32_e32 v8, v150, v1
	v_fmac_f32_e32 v8, v149, v0
	v_mul_f32_e32 v0, v150, v0
	v_fma_f32 v0, v149, v1, -v0
	v_cvt_f64_f32_e32 v[0:1], v0
	v_cvt_f64_f32_e32 v[8:9], v8
	s_lshl_b64 s[4:5], s[4:5], 3
	v_mov_b32_e32 v14, s5
	v_mul_f64 v[0:1], v[0:1], s[2:3]
	v_mul_f64 v[8:9], v[8:9], s[2:3]
	v_add_co_u32_e32 v6, vcc, s4, v6
	v_addc_co_u32_e32 v7, vcc, v7, v14, vcc
	global_store_dwordx2 v[6:7], v[4:5], off
	v_add_co_u32_e32 v6, vcc, s4, v6
	v_cvt_f32_f64_e32 v5, v[0:1]
	v_mul_f32_e32 v0, v145, v3
	v_fmac_f32_e32 v0, v144, v2
	v_cvt_f32_f64_e32 v4, v[8:9]
	v_cvt_f64_f32_e32 v[8:9], v0
	v_mul_f32_e32 v0, v145, v2
	v_fma_f32 v0, v144, v3, -v0
	v_cvt_f64_f32_e32 v[10:11], v0
	v_add_u32_e32 v0, 0x1000, v161
	ds_read2_b64 v[0:3], v0 offset0:28 offset1:163
	v_addc_co_u32_e32 v7, vcc, v7, v14, vcc
	global_store_dwordx2 v[6:7], v[4:5], off
	v_mul_f64 v[4:5], v[8:9], s[2:3]
	v_mul_f64 v[8:9], v[10:11], s[2:3]
	s_waitcnt lgkmcnt(0)
	v_mul_f32_e32 v10, v152, v1
	v_fmac_f32_e32 v10, v151, v0
	v_mul_f32_e32 v0, v152, v0
	v_fma_f32 v0, v151, v1, -v0
	v_cvt_f64_f32_e32 v[0:1], v0
	v_cvt_f64_f32_e32 v[10:11], v10
	v_cvt_f32_f64_e32 v4, v[4:5]
	v_cvt_f32_f64_e32 v5, v[8:9]
	v_mul_f64 v[0:1], v[0:1], s[2:3]
	v_mul_f64 v[8:9], v[10:11], s[2:3]
	v_add_co_u32_e32 v6, vcc, s4, v6
	v_addc_co_u32_e32 v7, vcc, v7, v14, vcc
	global_store_dwordx2 v[6:7], v[4:5], off
	v_add_co_u32_e32 v6, vcc, s4, v6
	v_cvt_f32_f64_e32 v5, v[0:1]
	v_mul_f32_e32 v0, v148, v3
	v_fmac_f32_e32 v0, v147, v2
	v_cvt_f32_f64_e32 v4, v[8:9]
	v_cvt_f64_f32_e32 v[8:9], v0
	v_mul_f32_e32 v0, v148, v2
	v_fma_f32 v0, v147, v3, -v0
	v_cvt_f64_f32_e32 v[10:11], v0
	v_add_u32_e32 v0, 0x1800, v161
	ds_read2_b64 v[0:3], v0 offset0:42 offset1:177
	v_mul_f64 v[8:9], v[8:9], s[2:3]
	v_mul_f64 v[10:11], v[10:11], s[2:3]
	v_addc_co_u32_e32 v7, vcc, v7, v14, vcc
	s_waitcnt lgkmcnt(0)
	v_mul_f32_e32 v12, v143, v1
	v_fmac_f32_e32 v12, v142, v0
	v_mul_f32_e32 v0, v143, v0
	v_fma_f32 v0, v142, v1, -v0
	v_cvt_f64_f32_e32 v[0:1], v0
	v_cvt_f64_f32_e32 v[12:13], v12
	global_store_dwordx2 v[6:7], v[4:5], off
	v_cvt_f32_f64_e32 v4, v[8:9]
	v_mul_f64 v[0:1], v[0:1], s[2:3]
	v_mul_f64 v[8:9], v[12:13], s[2:3]
	v_cvt_f32_f64_e32 v5, v[10:11]
	v_add_co_u32_e32 v6, vcc, s4, v6
	v_addc_co_u32_e32 v7, vcc, v7, v14, vcc
	global_store_dwordx2 v[6:7], v[4:5], off
	v_cvt_f32_f64_e32 v5, v[0:1]
	v_mul_f32_e32 v0, v139, v3
	v_fmac_f32_e32 v0, v138, v2
	v_cvt_f32_f64_e32 v4, v[8:9]
	v_cvt_f64_f32_e32 v[8:9], v0
	v_mul_f32_e32 v0, v139, v2
	v_fma_f32 v0, v138, v3, -v0
	v_cvt_f64_f32_e32 v[10:11], v0
	v_add_u32_e32 v0, 0x2000, v161
	ds_read2_b64 v[0:3], v0 offset0:56 offset1:191
	v_mul_f64 v[8:9], v[8:9], s[2:3]
	v_mul_f64 v[10:11], v[10:11], s[2:3]
	v_add_co_u32_e32 v6, vcc, s4, v6
	s_waitcnt lgkmcnt(0)
	v_mul_f32_e32 v12, v141, v1
	v_fmac_f32_e32 v12, v140, v0
	v_mul_f32_e32 v0, v141, v0
	v_fma_f32 v0, v140, v1, -v0
	v_cvt_f64_f32_e32 v[0:1], v0
	v_cvt_f64_f32_e32 v[12:13], v12
	v_addc_co_u32_e32 v7, vcc, v7, v14, vcc
	v_mul_f64 v[0:1], v[0:1], s[2:3]
	global_store_dwordx2 v[6:7], v[4:5], off
	v_cvt_f32_f64_e32 v4, v[8:9]
	v_mul_f64 v[8:9], v[12:13], s[2:3]
	v_cvt_f32_f64_e32 v5, v[10:11]
	v_add_co_u32_e32 v6, vcc, s4, v6
	v_addc_co_u32_e32 v7, vcc, v7, v14, vcc
	global_store_dwordx2 v[6:7], v[4:5], off
	v_cvt_f32_f64_e32 v5, v[0:1]
	v_mul_f32_e32 v0, v135, v3
	v_fmac_f32_e32 v0, v134, v2
	v_cvt_f32_f64_e32 v4, v[8:9]
	v_cvt_f64_f32_e32 v[8:9], v0
	v_mul_f32_e32 v0, v135, v2
	v_fma_f32 v0, v134, v3, -v0
	v_cvt_f64_f32_e32 v[10:11], v0
	ds_read2_b64 v[0:3], v26 offset0:70 offset1:205
	v_mul_f64 v[8:9], v[8:9], s[2:3]
	v_add_co_u32_e32 v6, vcc, s4, v6
	v_mul_f64 v[10:11], v[10:11], s[2:3]
	s_waitcnt lgkmcnt(0)
	v_mul_f32_e32 v12, v137, v1
	v_fmac_f32_e32 v12, v136, v0
	v_cvt_f64_f32_e32 v[12:13], v12
	v_mul_f32_e32 v0, v137, v0
	v_fma_f32 v0, v136, v1, -v0
	v_addc_co_u32_e32 v7, vcc, v7, v14, vcc
	v_cvt_f64_f32_e32 v[0:1], v0
	global_store_dwordx2 v[6:7], v[4:5], off
	v_cvt_f32_f64_e32 v4, v[8:9]
	v_mul_f64 v[8:9], v[12:13], s[2:3]
	v_mul_f64 v[0:1], v[0:1], s[2:3]
	v_cvt_f32_f64_e32 v5, v[10:11]
	v_add_co_u32_e32 v6, vcc, s4, v6
	v_addc_co_u32_e32 v7, vcc, v7, v14, vcc
	global_store_dwordx2 v[6:7], v[4:5], off
	v_cvt_f32_f64_e32 v4, v[8:9]
	ds_read_b64 v[8:9], v161 offset:12960
	v_cvt_f32_f64_e32 v5, v[0:1]
	v_mul_f32_e32 v0, v133, v3
	v_fmac_f32_e32 v0, v132, v2
	v_mul_f32_e32 v2, v133, v2
	v_fma_f32 v2, v132, v3, -v2
	s_waitcnt lgkmcnt(0)
	v_mul_f32_e32 v10, v131, v9
	v_cvt_f64_f32_e32 v[0:1], v0
	v_cvt_f64_f32_e32 v[2:3], v2
	v_fmac_f32_e32 v10, v130, v8
	v_mul_f32_e32 v8, v131, v8
	v_fma_f32 v8, v130, v9, -v8
	v_cvt_f64_f32_e32 v[10:11], v10
	v_cvt_f64_f32_e32 v[8:9], v8
	v_add_co_u32_e32 v6, vcc, s4, v6
	v_mul_f64 v[0:1], v[0:1], s[2:3]
	v_mul_f64 v[2:3], v[2:3], s[2:3]
	v_addc_co_u32_e32 v7, vcc, v7, v14, vcc
	global_store_dwordx2 v[6:7], v[4:5], off
	v_mul_f64 v[4:5], v[10:11], s[2:3]
	v_mul_f64 v[8:9], v[8:9], s[2:3]
	s_movk_i32 s6, 0x1000
	v_cvt_f32_f64_e32 v0, v[0:1]
	v_cvt_f32_f64_e32 v1, v[2:3]
	v_add_co_u32_e32 v2, vcc, s4, v6
	v_addc_co_u32_e32 v3, vcc, v7, v14, vcc
	v_cvt_f32_f64_e32 v4, v[4:5]
	v_cvt_f32_f64_e32 v5, v[8:9]
	global_store_dwordx2 v[2:3], v[0:1], off
	v_add_co_u32_e32 v0, vcc, s4, v2
	v_addc_co_u32_e32 v1, vcc, v3, v14, vcc
	global_store_dwordx2 v[0:1], v[4:5], off
	s_and_b64 exec, exec, s[0:1]
	s_cbranch_execz .LBB0_15
; %bb.14:
	global_load_dwordx2 v[6:7], v[128:129], off offset:936
	ds_read2_b64 v[2:5], v161 offset0:117 offset1:252
	v_mov_b32_e32 v10, s5
	s_waitcnt vmcnt(0) lgkmcnt(0)
	v_mul_f32_e32 v8, v3, v7
	v_mul_f32_e32 v7, v2, v7
	v_fmac_f32_e32 v8, v2, v6
	v_fma_f32 v6, v6, v3, -v7
	v_cvt_f64_f32_e32 v[2:3], v8
	v_cvt_f64_f32_e32 v[6:7], v6
	v_mov_b32_e32 v8, 0xffffd108
	v_mad_u64_u32 v[0:1], s[0:1], s8, v8, v[0:1]
	v_mul_f64 v[2:3], v[2:3], s[2:3]
	v_mul_f64 v[6:7], v[6:7], s[2:3]
	s_mul_i32 s0, s9, 0xffffd108
	s_sub_i32 s0, s0, s8
	v_add_u32_e32 v1, s0, v1
	s_movk_i32 s0, 0x3000
	v_cvt_f32_f64_e32 v2, v[2:3]
	v_cvt_f32_f64_e32 v3, v[6:7]
	global_store_dwordx2 v[0:1], v[2:3], off
	global_load_dwordx2 v[2:3], v[128:129], off offset:2016
	s_waitcnt vmcnt(0)
	v_mul_f32_e32 v6, v5, v3
	v_mul_f32_e32 v3, v4, v3
	v_fmac_f32_e32 v6, v4, v2
	v_fma_f32 v4, v2, v5, -v3
	v_cvt_f64_f32_e32 v[2:3], v6
	v_cvt_f64_f32_e32 v[4:5], v4
	v_mul_f64 v[2:3], v[2:3], s[2:3]
	v_mul_f64 v[4:5], v[4:5], s[2:3]
	v_cvt_f32_f64_e32 v2, v[2:3]
	v_cvt_f32_f64_e32 v3, v[4:5]
	v_add_co_u32_e32 v4, vcc, s4, v0
	v_addc_co_u32_e32 v5, vcc, v1, v10, vcc
	global_store_dwordx2 v[4:5], v[2:3], off
	global_load_dwordx2 v[6:7], v[128:129], off offset:3096
	ds_read2_b64 v[0:3], v25 offset0:3 offset1:138
	s_waitcnt vmcnt(0) lgkmcnt(0)
	v_mul_f32_e32 v8, v1, v7
	v_mul_f32_e32 v7, v0, v7
	v_fmac_f32_e32 v8, v0, v6
	v_fma_f32 v6, v6, v1, -v7
	v_cvt_f64_f32_e32 v[0:1], v8
	v_cvt_f64_f32_e32 v[6:7], v6
	v_add_co_u32_e32 v8, vcc, s6, v128
	v_mul_f64 v[0:1], v[0:1], s[2:3]
	v_mul_f64 v[6:7], v[6:7], s[2:3]
	v_addc_co_u32_e32 v9, vcc, 0, v129, vcc
	v_add_co_u32_e32 v4, vcc, s4, v4
	v_addc_co_u32_e32 v5, vcc, v5, v10, vcc
	v_cvt_f32_f64_e32 v0, v[0:1]
	v_cvt_f32_f64_e32 v1, v[6:7]
	global_store_dwordx2 v[4:5], v[0:1], off
	global_load_dwordx2 v[0:1], v[8:9], off offset:80
	v_add_co_u32_e32 v4, vcc, s4, v4
	v_addc_co_u32_e32 v5, vcc, v5, v10, vcc
	s_waitcnt vmcnt(0)
	v_mul_f32_e32 v6, v3, v1
	v_mul_f32_e32 v1, v2, v1
	v_fmac_f32_e32 v6, v2, v0
	v_fma_f32 v2, v0, v3, -v1
	v_cvt_f64_f32_e32 v[0:1], v6
	v_cvt_f64_f32_e32 v[2:3], v2
	v_mul_f64 v[0:1], v[0:1], s[2:3]
	v_mul_f64 v[2:3], v[2:3], s[2:3]
	v_cvt_f32_f64_e32 v0, v[0:1]
	v_cvt_f32_f64_e32 v1, v[2:3]
	global_store_dwordx2 v[4:5], v[0:1], off
	global_load_dwordx2 v[6:7], v[8:9], off offset:1160
	ds_read2_b64 v[0:3], v24 offset0:17 offset1:152
	v_add_co_u32_e32 v4, vcc, s4, v4
	v_addc_co_u32_e32 v5, vcc, v5, v10, vcc
	s_waitcnt vmcnt(0) lgkmcnt(0)
	v_mul_f32_e32 v11, v1, v7
	v_mul_f32_e32 v7, v0, v7
	v_fmac_f32_e32 v11, v0, v6
	v_fma_f32 v6, v6, v1, -v7
	v_cvt_f64_f32_e32 v[0:1], v11
	v_cvt_f64_f32_e32 v[6:7], v6
	v_mul_f64 v[0:1], v[0:1], s[2:3]
	v_mul_f64 v[6:7], v[6:7], s[2:3]
	v_cvt_f32_f64_e32 v0, v[0:1]
	v_cvt_f32_f64_e32 v1, v[6:7]
	global_store_dwordx2 v[4:5], v[0:1], off
	global_load_dwordx2 v[0:1], v[8:9], off offset:2240
	v_add_co_u32_e32 v4, vcc, s4, v4
	v_addc_co_u32_e32 v5, vcc, v5, v10, vcc
	s_waitcnt vmcnt(0)
	v_mul_f32_e32 v6, v3, v1
	v_mul_f32_e32 v1, v2, v1
	v_fmac_f32_e32 v6, v2, v0
	v_fma_f32 v2, v0, v3, -v1
	v_cvt_f64_f32_e32 v[0:1], v6
	v_cvt_f64_f32_e32 v[2:3], v2
	v_mul_f64 v[0:1], v[0:1], s[2:3]
	v_mul_f64 v[2:3], v[2:3], s[2:3]
	v_cvt_f32_f64_e32 v0, v[0:1]
	v_cvt_f32_f64_e32 v1, v[2:3]
	global_store_dwordx2 v[4:5], v[0:1], off
	global_load_dwordx2 v[6:7], v[8:9], off offset:3320
	ds_read2_b64 v[0:3], v23 offset0:31 offset1:166
	s_waitcnt vmcnt(0) lgkmcnt(0)
	v_mul_f32_e32 v8, v1, v7
	v_mul_f32_e32 v7, v0, v7
	v_fmac_f32_e32 v8, v0, v6
	v_fma_f32 v6, v6, v1, -v7
	v_cvt_f64_f32_e32 v[0:1], v8
	v_cvt_f64_f32_e32 v[6:7], v6
	v_add_co_u32_e32 v8, vcc, s10, v128
	v_mul_f64 v[0:1], v[0:1], s[2:3]
	v_mul_f64 v[6:7], v[6:7], s[2:3]
	v_addc_co_u32_e32 v9, vcc, 0, v129, vcc
	v_add_co_u32_e32 v4, vcc, s4, v4
	v_addc_co_u32_e32 v5, vcc, v5, v10, vcc
	v_cvt_f32_f64_e32 v0, v[0:1]
	v_cvt_f32_f64_e32 v1, v[6:7]
	global_store_dwordx2 v[4:5], v[0:1], off
	global_load_dwordx2 v[0:1], v[8:9], off offset:304
	v_add_co_u32_e32 v4, vcc, s4, v4
	v_addc_co_u32_e32 v5, vcc, v5, v10, vcc
	s_waitcnt vmcnt(0)
	v_mul_f32_e32 v6, v3, v1
	v_mul_f32_e32 v1, v2, v1
	v_fmac_f32_e32 v6, v2, v0
	v_fma_f32 v2, v0, v3, -v1
	v_cvt_f64_f32_e32 v[0:1], v6
	v_cvt_f64_f32_e32 v[2:3], v2
	v_mul_f64 v[0:1], v[0:1], s[2:3]
	v_mul_f64 v[2:3], v[2:3], s[2:3]
	v_cvt_f32_f64_e32 v0, v[0:1]
	v_cvt_f32_f64_e32 v1, v[2:3]
	global_store_dwordx2 v[4:5], v[0:1], off
	global_load_dwordx2 v[6:7], v[8:9], off offset:1384
	ds_read2_b64 v[0:3], v22 offset0:45 offset1:180
	v_add_co_u32_e32 v4, vcc, s4, v4
	v_addc_co_u32_e32 v5, vcc, v5, v10, vcc
	s_waitcnt vmcnt(0) lgkmcnt(0)
	v_mul_f32_e32 v11, v1, v7
	v_mul_f32_e32 v7, v0, v7
	v_fmac_f32_e32 v11, v0, v6
	v_fma_f32 v6, v6, v1, -v7
	v_cvt_f64_f32_e32 v[0:1], v11
	v_cvt_f64_f32_e32 v[6:7], v6
	v_mul_f64 v[0:1], v[0:1], s[2:3]
	v_mul_f64 v[6:7], v[6:7], s[2:3]
	v_cvt_f32_f64_e32 v0, v[0:1]
	v_cvt_f32_f64_e32 v1, v[6:7]
	global_store_dwordx2 v[4:5], v[0:1], off
	global_load_dwordx2 v[0:1], v[8:9], off offset:2464
	v_add_co_u32_e32 v4, vcc, s4, v4
	v_addc_co_u32_e32 v5, vcc, v5, v10, vcc
	s_waitcnt vmcnt(0)
	v_mul_f32_e32 v6, v3, v1
	v_mul_f32_e32 v1, v2, v1
	v_fmac_f32_e32 v6, v2, v0
	v_fma_f32 v2, v0, v3, -v1
	v_cvt_f64_f32_e32 v[0:1], v6
	v_cvt_f64_f32_e32 v[2:3], v2
	v_mul_f64 v[0:1], v[0:1], s[2:3]
	v_mul_f64 v[2:3], v[2:3], s[2:3]
	v_cvt_f32_f64_e32 v0, v[0:1]
	v_cvt_f32_f64_e32 v1, v[2:3]
	global_store_dwordx2 v[4:5], v[0:1], off
	global_load_dwordx2 v[6:7], v[8:9], off offset:3544
	v_add_u32_e32 v0, 0x2c00, v161
	ds_read2_b64 v[0:3], v0 offset0:59 offset1:194
	s_waitcnt vmcnt(0) lgkmcnt(0)
	v_mul_f32_e32 v8, v1, v7
	v_mul_f32_e32 v7, v0, v7
	v_fmac_f32_e32 v8, v0, v6
	v_fma_f32 v6, v6, v1, -v7
	v_cvt_f64_f32_e32 v[0:1], v8
	v_cvt_f64_f32_e32 v[6:7], v6
	v_add_co_u32_e32 v8, vcc, s0, v128
	v_mul_f64 v[0:1], v[0:1], s[2:3]
	v_mul_f64 v[6:7], v[6:7], s[2:3]
	v_addc_co_u32_e32 v9, vcc, 0, v129, vcc
	v_add_co_u32_e32 v4, vcc, s4, v4
	v_addc_co_u32_e32 v5, vcc, v5, v10, vcc
	v_cvt_f32_f64_e32 v0, v[0:1]
	v_cvt_f32_f64_e32 v1, v[6:7]
	global_store_dwordx2 v[4:5], v[0:1], off
	global_load_dwordx2 v[0:1], v[8:9], off offset:528
	s_waitcnt vmcnt(0)
	v_mul_f32_e32 v6, v3, v1
	v_mul_f32_e32 v1, v2, v1
	v_fmac_f32_e32 v6, v2, v0
	v_fma_f32 v2, v0, v3, -v1
	v_cvt_f64_f32_e32 v[0:1], v6
	v_cvt_f64_f32_e32 v[2:3], v2
	v_mul_f64 v[0:1], v[0:1], s[2:3]
	v_mul_f64 v[2:3], v[2:3], s[2:3]
	v_cvt_f32_f64_e32 v0, v[0:1]
	v_cvt_f32_f64_e32 v1, v[2:3]
	v_add_co_u32_e32 v2, vcc, s4, v4
	v_addc_co_u32_e32 v3, vcc, v5, v10, vcc
	global_store_dwordx2 v[2:3], v[0:1], off
	global_load_dwordx2 v[0:1], v[8:9], off offset:1608
	ds_read_b64 v[4:5], v161 offset:13896
	v_add_co_u32_e32 v2, vcc, s4, v2
	v_addc_co_u32_e32 v3, vcc, v3, v10, vcc
	s_waitcnt vmcnt(0) lgkmcnt(0)
	v_mul_f32_e32 v6, v5, v1
	v_mul_f32_e32 v1, v4, v1
	v_fmac_f32_e32 v6, v4, v0
	v_fma_f32 v4, v0, v5, -v1
	v_cvt_f64_f32_e32 v[0:1], v6
	v_cvt_f64_f32_e32 v[4:5], v4
	v_mul_f64 v[0:1], v[0:1], s[2:3]
	v_mul_f64 v[4:5], v[4:5], s[2:3]
	v_cvt_f32_f64_e32 v0, v[0:1]
	v_cvt_f32_f64_e32 v1, v[4:5]
	global_store_dwordx2 v[2:3], v[0:1], off
.LBB0_15:
	s_endpgm
	.section	.rodata,"a",@progbits
	.p2align	6, 0x0
	.amdhsa_kernel bluestein_single_back_len1755_dim1_sp_op_CI_CI
		.amdhsa_group_segment_fixed_size 14040
		.amdhsa_private_segment_fixed_size 0
		.amdhsa_kernarg_size 104
		.amdhsa_user_sgpr_count 6
		.amdhsa_user_sgpr_private_segment_buffer 1
		.amdhsa_user_sgpr_dispatch_ptr 0
		.amdhsa_user_sgpr_queue_ptr 0
		.amdhsa_user_sgpr_kernarg_segment_ptr 1
		.amdhsa_user_sgpr_dispatch_id 0
		.amdhsa_user_sgpr_flat_scratch_init 0
		.amdhsa_user_sgpr_private_segment_size 0
		.amdhsa_uses_dynamic_stack 0
		.amdhsa_system_sgpr_private_segment_wavefront_offset 0
		.amdhsa_system_sgpr_workgroup_id_x 1
		.amdhsa_system_sgpr_workgroup_id_y 0
		.amdhsa_system_sgpr_workgroup_id_z 0
		.amdhsa_system_sgpr_workgroup_info 0
		.amdhsa_system_vgpr_workitem_id 0
		.amdhsa_next_free_vgpr 248
		.amdhsa_next_free_sgpr 22
		.amdhsa_reserve_vcc 1
		.amdhsa_reserve_flat_scratch 0
		.amdhsa_float_round_mode_32 0
		.amdhsa_float_round_mode_16_64 0
		.amdhsa_float_denorm_mode_32 3
		.amdhsa_float_denorm_mode_16_64 3
		.amdhsa_dx10_clamp 1
		.amdhsa_ieee_mode 1
		.amdhsa_fp16_overflow 0
		.amdhsa_exception_fp_ieee_invalid_op 0
		.amdhsa_exception_fp_denorm_src 0
		.amdhsa_exception_fp_ieee_div_zero 0
		.amdhsa_exception_fp_ieee_overflow 0
		.amdhsa_exception_fp_ieee_underflow 0
		.amdhsa_exception_fp_ieee_inexact 0
		.amdhsa_exception_int_div_zero 0
	.end_amdhsa_kernel
	.text
.Lfunc_end0:
	.size	bluestein_single_back_len1755_dim1_sp_op_CI_CI, .Lfunc_end0-bluestein_single_back_len1755_dim1_sp_op_CI_CI
                                        ; -- End function
	.section	.AMDGPU.csdata,"",@progbits
; Kernel info:
; codeLenInByte = 25724
; NumSgprs: 26
; NumVgprs: 248
; ScratchSize: 0
; MemoryBound: 0
; FloatMode: 240
; IeeeMode: 1
; LDSByteSize: 14040 bytes/workgroup (compile time only)
; SGPRBlocks: 3
; VGPRBlocks: 61
; NumSGPRsForWavesPerEU: 26
; NumVGPRsForWavesPerEU: 248
; Occupancy: 1
; WaveLimiterHint : 1
; COMPUTE_PGM_RSRC2:SCRATCH_EN: 0
; COMPUTE_PGM_RSRC2:USER_SGPR: 6
; COMPUTE_PGM_RSRC2:TRAP_HANDLER: 0
; COMPUTE_PGM_RSRC2:TGID_X_EN: 1
; COMPUTE_PGM_RSRC2:TGID_Y_EN: 0
; COMPUTE_PGM_RSRC2:TGID_Z_EN: 0
; COMPUTE_PGM_RSRC2:TIDIG_COMP_CNT: 0
	.type	__hip_cuid_7d8b95e008666cce,@object ; @__hip_cuid_7d8b95e008666cce
	.section	.bss,"aw",@nobits
	.globl	__hip_cuid_7d8b95e008666cce
__hip_cuid_7d8b95e008666cce:
	.byte	0                               ; 0x0
	.size	__hip_cuid_7d8b95e008666cce, 1

	.ident	"AMD clang version 19.0.0git (https://github.com/RadeonOpenCompute/llvm-project roc-6.4.0 25133 c7fe45cf4b819c5991fe208aaa96edf142730f1d)"
	.section	".note.GNU-stack","",@progbits
	.addrsig
	.addrsig_sym __hip_cuid_7d8b95e008666cce
	.amdgpu_metadata
---
amdhsa.kernels:
  - .args:
      - .actual_access:  read_only
        .address_space:  global
        .offset:         0
        .size:           8
        .value_kind:     global_buffer
      - .actual_access:  read_only
        .address_space:  global
        .offset:         8
        .size:           8
        .value_kind:     global_buffer
      - .actual_access:  read_only
        .address_space:  global
        .offset:         16
        .size:           8
        .value_kind:     global_buffer
      - .actual_access:  read_only
        .address_space:  global
        .offset:         24
        .size:           8
        .value_kind:     global_buffer
      - .actual_access:  read_only
        .address_space:  global
        .offset:         32
        .size:           8
        .value_kind:     global_buffer
      - .offset:         40
        .size:           8
        .value_kind:     by_value
      - .address_space:  global
        .offset:         48
        .size:           8
        .value_kind:     global_buffer
      - .address_space:  global
        .offset:         56
        .size:           8
        .value_kind:     global_buffer
      - .address_space:  global
        .offset:         64
        .size:           8
        .value_kind:     global_buffer
      - .address_space:  global
        .offset:         72
        .size:           8
        .value_kind:     global_buffer
      - .offset:         80
        .size:           4
        .value_kind:     by_value
      - .address_space:  global
        .offset:         88
        .size:           8
        .value_kind:     global_buffer
      - .address_space:  global
        .offset:         96
        .size:           8
        .value_kind:     global_buffer
    .group_segment_fixed_size: 14040
    .kernarg_segment_align: 8
    .kernarg_segment_size: 104
    .language:       OpenCL C
    .language_version:
      - 2
      - 0
    .max_flat_workgroup_size: 117
    .name:           bluestein_single_back_len1755_dim1_sp_op_CI_CI
    .private_segment_fixed_size: 0
    .sgpr_count:     26
    .sgpr_spill_count: 0
    .symbol:         bluestein_single_back_len1755_dim1_sp_op_CI_CI.kd
    .uniform_work_group_size: 1
    .uses_dynamic_stack: false
    .vgpr_count:     248
    .vgpr_spill_count: 0
    .wavefront_size: 64
amdhsa.target:   amdgcn-amd-amdhsa--gfx906
amdhsa.version:
  - 1
  - 2
...

	.end_amdgpu_metadata
